;; amdgpu-corpus repo=ROCm/rocFFT kind=compiled arch=gfx1030 opt=O3
	.text
	.amdgcn_target "amdgcn-amd-amdhsa--gfx1030"
	.amdhsa_code_object_version 6
	.protected	bluestein_single_fwd_len50_dim1_half_op_CI_CI ; -- Begin function bluestein_single_fwd_len50_dim1_half_op_CI_CI
	.globl	bluestein_single_fwd_len50_dim1_half_op_CI_CI
	.p2align	8
	.type	bluestein_single_fwd_len50_dim1_half_op_CI_CI,@function
bluestein_single_fwd_len50_dim1_half_op_CI_CI: ; @bluestein_single_fwd_len50_dim1_half_op_CI_CI
; %bb.0:
	s_load_dwordx4 s[0:3], s[4:5], 0x28
	v_mul_u32_u24_e32 v1, 0x199a, v0
	v_lshrrev_b32_e32 v1, 16, v1
	v_mad_u64_u32 v[4:5], null, s6, 25, v[1:2]
	v_mov_b32_e32 v5, 0
	s_waitcnt lgkmcnt(0)
	v_cmp_gt_u64_e32 vcc_lo, s[0:1], v[4:5]
	s_and_saveexec_b32 s0, vcc_lo
	s_cbranch_execz .LBB0_15
; %bb.1:
	v_mul_hi_u32 v2, 0x51eb851f, v4
	v_mul_lo_u16 v1, v1, 10
	s_clause 0x1
	s_load_dwordx2 s[12:13], s[4:5], 0x0
	s_load_dwordx2 s[6:7], s[4:5], 0x38
	v_sub_nc_u16 v0, v0, v1
	v_lshrrev_b32_e32 v2, 3, v2
	v_and_b32_e32 v18, 0xffff, v0
	v_cmp_gt_u16_e32 vcc_lo, 5, v0
	v_mul_lo_u32 v2, v2, 25
	v_lshlrev_b32_e32 v17, 2, v18
	v_or_b32_e32 v16, 40, v18
	v_sub_nc_u32_e32 v1, v4, v2
	v_mul_u32_u24_e32 v19, 50, v1
	v_lshlrev_b32_e32 v20, 2, v19
	s_and_saveexec_b32 s1, vcc_lo
	s_cbranch_execz .LBB0_3
; %bb.2:
	s_load_dwordx2 s[8:9], s[4:5], 0x18
	v_add_nc_u32_e32 v29, v20, v17
	s_waitcnt lgkmcnt(0)
	s_load_dwordx4 s[8:11], s[8:9], 0x0
	s_clause 0x3
	global_load_dword v13, v17, s[12:13]
	global_load_dword v14, v17, s[12:13] offset:20
	global_load_dword v15, v17, s[12:13] offset:160
	;; [unrolled: 1-line block ×3, first 2 shown]
	s_waitcnt lgkmcnt(0)
	v_mad_u64_u32 v[0:1], null, s10, v4, 0
	v_mad_u64_u32 v[2:3], null, s8, v18, 0
	s_mul_i32 s10, s9, 20
	s_mul_i32 s14, s8, 20
	v_mad_u64_u32 v[5:6], null, s11, v4, v[1:2]
	v_mad_u64_u32 v[8:9], null, s9, v18, v[3:4]
	;; [unrolled: 1-line block ×3, first 2 shown]
	s_mul_hi_u32 s11, s8, 20
	v_mov_b32_e32 v1, v5
	s_add_i32 s11, s11, s10
	v_mov_b32_e32 v3, v8
	v_mov_b32_e32 v5, v7
	v_lshlrev_b64 v[0:1], 2, v[0:1]
	v_lshlrev_b64 v[2:3], 2, v[2:3]
	v_mad_u64_u32 v[7:8], null, s9, v16, v[5:6]
	v_add_co_u32 v9, s0, s2, v0
	v_add_co_ci_u32_e64 v10, s0, s3, v1, s0
	v_add_co_u32 v0, s0, v9, v2
	v_add_co_ci_u32_e64 v1, s0, v10, v3, s0
	v_lshlrev_b64 v[5:6], 2, v[6:7]
	v_add_co_u32 v2, s0, v0, s14
	v_add_co_ci_u32_e64 v3, s0, s11, v1, s0
	global_load_dword v21, v[0:1], off
	v_add_co_u32 v7, s0, v2, s14
	v_add_co_ci_u32_e64 v8, s0, s11, v3, s0
	v_add_co_u32 v5, s0, v9, v5
	v_add_co_ci_u32_e64 v6, s0, v10, v6, s0
	;; [unrolled: 2-line block ×3, first 2 shown]
	s_clause 0x2
	global_load_dword v22, v[5:6], off
	global_load_dword v24, v[7:8], off
	;; [unrolled: 1-line block ×3, first 2 shown]
	v_add_co_u32 v0, s0, v9, s14
	v_add_co_ci_u32_e64 v1, s0, s11, v10, s0
	global_load_dword v9, v[9:10], off
	global_load_dword v10, v17, s[12:13] offset:60
	global_load_dword v26, v[0:1], off
	v_add_co_u32 v5, s0, v0, s14
	v_add_co_ci_u32_e64 v6, s0, s11, v1, s0
	global_load_dword v27, v17, s[12:13] offset:80
	v_add_co_u32 v2, s0, v5, s14
	v_add_co_ci_u32_e64 v3, s0, s11, v6, s0
	v_add_co_u32 v7, s0, v2, s14
	v_add_co_ci_u32_e64 v8, s0, s11, v3, s0
	v_mad_u64_u32 v[11:12], null, s8, 40, v[7:8]
	v_mov_b32_e32 v0, v12
	v_mad_u64_u32 v[0:1], null, s9, 40, v[0:1]
	global_load_dword v1, v[5:6], off
	global_load_dword v5, v17, s[12:13] offset:100
	global_load_dword v2, v[2:3], off
	v_mov_b32_e32 v12, v0
	global_load_dword v0, v17, s[12:13] offset:120
	global_load_dword v3, v[7:8], off
	global_load_dword v6, v[11:12], off
	s_clause 0x1
	global_load_dword v7, v17, s[12:13] offset:140
	global_load_dword v8, v17, s[12:13] offset:180
	v_lshl_add_u32 v11, v18, 2, v20
	s_waitcnt vmcnt(15)
	v_lshrrev_b32_e32 v12, 16, v21
	v_mul_f16_sdwa v28, v13, v21 dst_sel:DWORD dst_unused:UNUSED_PAD src0_sel:WORD_1 src1_sel:DWORD
	v_mul_f16_sdwa v32, v13, v12 dst_sel:DWORD dst_unused:UNUSED_PAD src0_sel:WORD_1 src1_sel:DWORD
	v_fma_f16 v12, v13, v12, -v28
	v_fmac_f16_e32 v32, v13, v21
	s_waitcnt vmcnt(14)
	v_lshrrev_b32_e32 v30, 16, v22
	v_mul_f16_sdwa v31, v15, v22 dst_sel:DWORD dst_unused:UNUSED_PAD src0_sel:WORD_1 src1_sel:DWORD
	s_waitcnt vmcnt(12)
	v_lshrrev_b32_e32 v28, 16, v23
	v_mul_f16_sdwa v33, v14, v23 dst_sel:DWORD dst_unused:UNUSED_PAD src0_sel:WORD_1 src1_sel:DWORD
	v_pack_b32_f16 v12, v32, v12
	v_mul_f16_sdwa v34, v15, v30 dst_sel:DWORD dst_unused:UNUSED_PAD src0_sel:WORD_1 src1_sel:DWORD
	v_fma_f16 v30, v15, v30, -v31
	v_mul_f16_sdwa v13, v14, v28 dst_sel:DWORD dst_unused:UNUSED_PAD src0_sel:WORD_1 src1_sel:DWORD
	v_fma_f16 v21, v14, v28, -v33
	v_lshrrev_b32_e32 v28, 16, v24
	v_fmac_f16_e32 v34, v15, v22
	s_waitcnt vmcnt(11)
	v_lshrrev_b32_e32 v22, 16, v9
	v_mul_f16_sdwa v31, v25, v24 dst_sel:DWORD dst_unused:UNUSED_PAD src0_sel:WORD_1 src1_sel:DWORD
	v_fmac_f16_e32 v13, v14, v23
	v_mul_f16_sdwa v14, v25, v28 dst_sel:DWORD dst_unused:UNUSED_PAD src0_sel:WORD_1 src1_sel:DWORD
	s_waitcnt vmcnt(10)
	v_mul_f16_sdwa v23, v10, v9 dst_sel:DWORD dst_unused:UNUSED_PAD src0_sel:WORD_1 src1_sel:DWORD
	ds_write_b32 v11, v12
	v_mul_f16_sdwa v12, v10, v22 dst_sel:DWORD dst_unused:UNUSED_PAD src0_sel:WORD_1 src1_sel:DWORD
	v_fma_f16 v15, v25, v28, -v31
	v_pack_b32_f16 v11, v13, v21
	v_fmac_f16_e32 v14, v25, v24
	s_waitcnt vmcnt(9)
	v_lshrrev_b32_e32 v13, 16, v26
	v_fma_f16 v21, v10, v22, -v23
	v_fmac_f16_e32 v12, v10, v9
	s_waitcnt vmcnt(8)
	v_mul_f16_sdwa v22, v27, v26 dst_sel:DWORD dst_unused:UNUSED_PAD src0_sel:WORD_1 src1_sel:DWORD
	v_pack_b32_f16 v14, v14, v15
	v_mul_f16_sdwa v9, v27, v13 dst_sel:DWORD dst_unused:UNUSED_PAD src0_sel:WORD_1 src1_sel:DWORD
	v_pack_b32_f16 v12, v12, v21
	v_fma_f16 v13, v27, v13, -v22
	v_fmac_f16_e32 v9, v27, v26
	v_pack_b32_f16 v9, v9, v13
	s_waitcnt vmcnt(7)
	v_lshrrev_b32_e32 v10, 16, v1
	s_waitcnt vmcnt(6)
	v_mul_f16_sdwa v15, v5, v1 dst_sel:DWORD dst_unused:UNUSED_PAD src0_sel:WORD_1 src1_sel:DWORD
	v_mul_f16_sdwa v21, v5, v10 dst_sel:DWORD dst_unused:UNUSED_PAD src0_sel:WORD_1 src1_sel:DWORD
	v_fma_f16 v10, v5, v10, -v15
	s_waitcnt vmcnt(5)
	v_lshrrev_b32_e32 v15, 16, v2
	s_waitcnt vmcnt(4)
	v_mul_f16_sdwa v22, v0, v2 dst_sel:DWORD dst_unused:UNUSED_PAD src0_sel:WORD_1 src1_sel:DWORD
	v_fmac_f16_e32 v21, v5, v1
	s_waitcnt vmcnt(3)
	v_lshrrev_b32_e32 v1, 16, v3
	s_waitcnt vmcnt(2)
	v_lshrrev_b32_e32 v5, 16, v6
	v_mul_f16_sdwa v13, v0, v15 dst_sel:DWORD dst_unused:UNUSED_PAD src0_sel:WORD_1 src1_sel:DWORD
	v_fma_f16 v15, v0, v15, -v22
	s_waitcnt vmcnt(1)
	v_mul_f16_sdwa v22, v7, v3 dst_sel:DWORD dst_unused:UNUSED_PAD src0_sel:WORD_1 src1_sel:DWORD
	v_mul_f16_sdwa v23, v7, v1 dst_sel:DWORD dst_unused:UNUSED_PAD src0_sel:WORD_1 src1_sel:DWORD
	s_waitcnt vmcnt(0)
	v_mul_f16_sdwa v24, v8, v5 dst_sel:DWORD dst_unused:UNUSED_PAD src0_sel:WORD_1 src1_sel:DWORD
	v_mul_f16_sdwa v25, v8, v6 dst_sel:DWORD dst_unused:UNUSED_PAD src0_sel:WORD_1 src1_sel:DWORD
	v_fmac_f16_e32 v13, v0, v2
	v_fma_f16 v0, v7, v1, -v22
	v_fmac_f16_e32 v23, v7, v3
	v_fmac_f16_e32 v24, v8, v6
	v_fma_f16 v1, v8, v5, -v25
	v_pack_b32_f16 v2, v21, v10
	v_pack_b32_f16 v3, v13, v15
	;; [unrolled: 1-line block ×5, first 2 shown]
	ds_write2_b32 v29, v11, v14 offset0:5 offset1:10
	ds_write2_b32 v29, v12, v9 offset0:15 offset1:20
	;; [unrolled: 1-line block ×4, first 2 shown]
	ds_write_b32 v29, v1 offset:180
.LBB0_3:
	s_or_b32 exec_lo, exec_lo, s1
	s_clause 0x1
	s_load_dwordx2 s[2:3], s[4:5], 0x20
	s_load_dwordx2 s[0:1], s[4:5], 0x8
	s_waitcnt lgkmcnt(0)
	s_barrier
	buffer_gl0_inv
                                        ; implicit-def: $vgpr9
                                        ; implicit-def: $vgpr5
                                        ; implicit-def: $vgpr7
                                        ; implicit-def: $vgpr2
                                        ; implicit-def: $vgpr0
	s_and_saveexec_b32 s4, vcc_lo
	s_cbranch_execz .LBB0_5
; %bb.4:
	v_lshl_add_u32 v0, v19, 2, v17
	ds_read2_b32 v[9:10], v0 offset1:5
	ds_read2_b32 v[5:6], v0 offset0:10 offset1:15
	ds_read2_b32 v[7:8], v0 offset0:20 offset1:25
	ds_read2_b32 v[2:3], v0 offset0:30 offset1:35
	ds_read2_b32 v[0:1], v0 offset0:40 offset1:45
.LBB0_5:
	s_or_b32 exec_lo, exec_lo, s4
	s_waitcnt lgkmcnt(1)
	v_add_f16_e32 v11, v7, v2
	s_waitcnt lgkmcnt(0)
	v_sub_f16_sdwa v23, v5, v0 dst_sel:DWORD dst_unused:UNUSED_PAD src0_sel:WORD_1 src1_sel:WORD_1
	v_add_f16_e32 v13, v5, v0
	v_sub_f16_sdwa v21, v7, v2 dst_sel:DWORD dst_unused:UNUSED_PAD src0_sel:WORD_1 src1_sel:WORD_1
	v_sub_f16_e32 v14, v0, v2
	v_fma_f16 v11, -0.5, v11, v9
	v_sub_f16_e32 v15, v5, v7
	v_sub_f16_e32 v24, v2, v0
	;; [unrolled: 1-line block ×3, first 2 shown]
	v_fma_f16 v13, -0.5, v13, v9
	v_fmamk_f16 v12, v23, 0x3b9c, v11
	v_fmac_f16_e32 v11, 0xbb9c, v23
	v_add_f16_sdwa v26, v7, v2 dst_sel:DWORD dst_unused:UNUSED_PAD src0_sel:WORD_1 src1_sel:WORD_1
	v_add_f16_e32 v27, v15, v14
	v_lshrrev_b32_e32 v15, 16, v9
	v_fmac_f16_e32 v12, 0x38b4, v21
	v_fmamk_f16 v14, v21, 0xbb9c, v13
	v_fmac_f16_e32 v11, 0xb8b4, v21
	v_fmac_f16_e32 v13, 0x3b9c, v21
	v_add_f16_e32 v24, v25, v24
	v_add_f16_sdwa v25, v5, v0 dst_sel:DWORD dst_unused:UNUSED_PAD src0_sel:WORD_1 src1_sel:WORD_1
	v_fmac_f16_e32 v12, 0x34f2, v27
	v_fma_f16 v21, -0.5, v26, v15
	v_fmac_f16_e32 v11, 0x34f2, v27
	v_fmac_f16_e32 v14, 0x38b4, v23
	;; [unrolled: 1-line block ×3, first 2 shown]
	v_sub_f16_e32 v26, v7, v2
	v_sub_f16_sdwa v27, v5, v7 dst_sel:DWORD dst_unused:UNUSED_PAD src0_sel:WORD_1 src1_sel:WORD_1
	v_sub_f16_sdwa v28, v0, v2 dst_sel:DWORD dst_unused:UNUSED_PAD src0_sel:WORD_1 src1_sel:WORD_1
	v_fmac_f16_e32 v15, -0.5, v25
	v_pk_add_f16 v22, v9, v5
	v_sub_f16_e32 v9, v5, v0
	v_fmac_f16_e32 v14, 0x34f2, v24
	v_fmac_f16_e32 v13, 0x34f2, v24
	v_add_f16_e32 v24, v27, v28
	v_fmamk_f16 v28, v26, 0x3b9c, v15
	v_sub_f16_sdwa v5, v7, v5 dst_sel:DWORD dst_unused:UNUSED_PAD src0_sel:WORD_1 src1_sel:WORD_1
	v_sub_f16_sdwa v25, v2, v0 dst_sel:DWORD dst_unused:UNUSED_PAD src0_sel:WORD_1 src1_sel:WORD_1
	v_fmac_f16_e32 v15, 0xbb9c, v26
	v_fmamk_f16 v23, v9, 0xbb9c, v21
	v_fmac_f16_e32 v28, 0xb8b4, v9
	v_fmac_f16_e32 v21, 0x3b9c, v9
	v_add_f16_e32 v5, v5, v25
	v_fmac_f16_e32 v15, 0x38b4, v9
	v_add_f16_e32 v27, v8, v3
	v_fmac_f16_e32 v23, 0xb8b4, v26
	v_fmac_f16_e32 v21, 0x38b4, v26
	;; [unrolled: 1-line block ×4, first 2 shown]
	v_add_f16_e32 v5, v6, v1
	v_fma_f16 v9, -0.5, v27, v10
	v_sub_f16_sdwa v25, v6, v1 dst_sel:DWORD dst_unused:UNUSED_PAD src0_sel:WORD_1 src1_sel:WORD_1
	v_sub_f16_sdwa v26, v8, v3 dst_sel:DWORD dst_unused:UNUSED_PAD src0_sel:WORD_1 src1_sel:WORD_1
	v_sub_f16_e32 v27, v1, v3
	v_sub_f16_e32 v29, v6, v8
	v_fma_f16 v32, -0.5, v5, v10
	v_fmac_f16_e32 v23, 0x34f2, v24
	v_fmac_f16_e32 v21, 0x34f2, v24
	v_fmamk_f16 v24, v25, 0x3b9c, v9
	v_fmac_f16_e32 v9, 0xbb9c, v25
	v_add_f16_e32 v27, v29, v27
	v_fmamk_f16 v30, v26, 0xbb9c, v32
	v_sub_f16_e32 v29, v3, v1
	v_sub_f16_e32 v31, v8, v6
	v_fmac_f16_e32 v32, 0x3b9c, v26
	v_pk_add_f16 v5, v10, v6
	v_fmac_f16_e32 v24, 0x38b4, v26
	v_fmac_f16_e32 v9, 0xb8b4, v26
	;; [unrolled: 1-line block ×3, first 2 shown]
	v_add_f16_e32 v26, v31, v29
	v_fmac_f16_e32 v32, 0xb8b4, v25
	v_pk_add_f16 v7, v22, v7
	v_add_f16_sdwa v22, v8, v3 dst_sel:DWORD dst_unused:UNUSED_PAD src0_sel:WORD_1 src1_sel:WORD_1
	v_lshrrev_b32_e32 v10, 16, v10
	v_add_f16_sdwa v25, v6, v1 dst_sel:DWORD dst_unused:UNUSED_PAD src0_sel:WORD_1 src1_sel:WORD_1
	v_fmac_f16_e32 v30, 0x34f2, v26
	v_fmac_f16_e32 v32, 0x34f2, v26
	v_pk_add_f16 v2, v7, v2
	v_fma_f16 v7, -0.5, v22, v10
	v_sub_f16_e32 v22, v6, v1
	v_sub_f16_e32 v26, v8, v3
	v_fmac_f16_e32 v10, -0.5, v25
	v_fmac_f16_e32 v24, 0x34f2, v27
	v_fmac_f16_e32 v9, 0x34f2, v27
	v_pk_add_f16 v0, v2, v0
	v_pk_add_f16 v2, v5, v8
	v_fmamk_f16 v25, v22, 0xbb9c, v7
	v_sub_f16_sdwa v5, v6, v8 dst_sel:DWORD dst_unused:UNUSED_PAD src0_sel:WORD_1 src1_sel:WORD_1
	v_fmamk_f16 v27, v26, 0x3b9c, v10
	v_sub_f16_sdwa v6, v8, v6 dst_sel:DWORD dst_unused:UNUSED_PAD src0_sel:WORD_1 src1_sel:WORD_1
	v_sub_f16_sdwa v8, v3, v1 dst_sel:DWORD dst_unused:UNUSED_PAD src0_sel:WORD_1 src1_sel:WORD_1
	;; [unrolled: 1-line block ×3, first 2 shown]
	v_fmac_f16_e32 v10, 0xbb9c, v26
	v_fmac_f16_e32 v7, 0x3b9c, v22
	;; [unrolled: 1-line block ×3, first 2 shown]
	v_add_f16_e32 v6, v6, v8
	v_add_f16_e32 v5, v5, v29
	v_fmac_f16_e32 v10, 0x38b4, v22
	v_fmac_f16_e32 v7, 0x38b4, v26
	;; [unrolled: 1-line block ×3, first 2 shown]
	v_pk_add_f16 v8, v2, v3
	v_fmac_f16_e32 v27, 0x34f2, v6
	v_fmac_f16_e32 v10, 0x34f2, v6
	v_mul_f16_e32 v6, 0x34f2, v32
	v_fmac_f16_e32 v7, 0x34f2, v5
	v_fmac_f16_e32 v25, 0x34f2, v5
	v_mul_f16_e32 v2, 0x3a79, v24
	v_mul_f16_e32 v3, 0x3b9c, v27
	v_pk_add_f16 v1, v8, v1
	v_fma_f16 v5, v10, 0x3b9c, -v6
	v_mul_f16_e32 v6, 0x3a79, v9
	v_mul_f16_e32 v29, 0xb8b4, v24
	;; [unrolled: 1-line block ×5, first 2 shown]
	v_fmac_f16_e32 v2, 0x38b4, v25
	v_fmac_f16_e32 v3, 0x34f2, v30
	v_fma_f16 v30, v7, 0x38b4, -v6
	v_fmac_f16_e32 v29, 0x3a79, v25
	v_fmac_f16_e32 v31, 0x34f2, v27
	v_fma_f16 v32, v32, 0xbb9c, -v8
	v_fma_f16 v33, v9, 0xb8b4, -v10
	v_sub_f16_e32 v7, v12, v2
	v_sub_f16_e32 v8, v14, v3
	;; [unrolled: 1-line block ×4, first 2 shown]
	v_pk_add_f16 v6, v0, v1 neg_lo:[0,1] neg_hi:[0,1]
	v_sub_f16_e32 v24, v23, v29
	v_sub_f16_e32 v26, v28, v31
	;; [unrolled: 1-line block ×4, first 2 shown]
	v_mul_lo_u16 v22, v18, 10
	s_barrier
	buffer_gl0_inv
	s_and_saveexec_b32 s4, vcc_lo
	s_cbranch_execz .LBB0_7
; %bb.6:
	v_add_f16_e32 v15, v15, v32
	v_add_f16_e32 v28, v28, v31
	;; [unrolled: 1-line block ×3, first 2 shown]
	v_and_b32_e32 v29, 0xffff, v22
	v_add_f16_e32 v30, v11, v30
	v_add_f16_e32 v5, v13, v5
	;; [unrolled: 1-line block ×5, first 2 shown]
	v_add_lshl_u32 v29, v19, v29, 2
	v_pk_add_f16 v0, v0, v1
	v_pack_b32_f16 v3, v5, v15
	v_pack_b32_f16 v2, v11, v28
	;; [unrolled: 1-line block ×3, first 2 shown]
	v_perm_b32 v12, v26, v8, 0x5040100
	v_perm_b32 v11, v24, v7, 0x5040100
	v_pack_b32_f16 v5, v30, v21
	v_perm_b32 v14, v27, v10, 0x5040100
	v_perm_b32 v13, v25, v9, 0x5040100
	ds_write2_b64 v29, v[0:1], v[2:3] offset1:1
	ds_write2_b64 v29, v[5:6], v[11:12] offset0:2 offset1:3
	ds_write_b64 v29, v[13:14] offset:32
.LBB0_7:
	s_or_b32 exec_lo, exec_lo, s4
	v_lshlrev_b32_e32 v0, 4, v18
	s_load_dwordx4 s[20:23], s[2:3], 0x0
	s_waitcnt lgkmcnt(0)
	s_barrier
	buffer_gl0_inv
	global_load_dwordx4 v[0:3], v0, s[0:1]
	v_add_lshl_u32 v23, v19, v18, 2
	ds_read2_b32 v[11:12], v23 offset1:10
	ds_read2_b32 v[13:14], v23 offset0:20 offset1:30
	ds_read_b32 v5, v23 offset:160
	v_lshl_add_u32 v21, v18, 2, v20
	s_waitcnt lgkmcnt(2)
	v_lshrrev_b32_e32 v15, 16, v12
	s_waitcnt lgkmcnt(1)
	v_lshrrev_b32_e32 v29, 16, v13
	v_lshrrev_b32_e32 v30, 16, v14
	s_waitcnt lgkmcnt(0)
	v_lshrrev_b32_e32 v31, 16, v5
	v_lshrrev_b32_e32 v28, 16, v11
	s_waitcnt vmcnt(0)
	v_mul_f16_sdwa v32, v15, v0 dst_sel:DWORD dst_unused:UNUSED_PAD src0_sel:DWORD src1_sel:WORD_1
	v_mul_f16_sdwa v34, v29, v1 dst_sel:DWORD dst_unused:UNUSED_PAD src0_sel:DWORD src1_sel:WORD_1
	;; [unrolled: 1-line block ×8, first 2 shown]
	v_fma_f16 v12, v12, v0, -v32
	v_fma_f16 v13, v13, v1, -v34
	v_fmac_f16_e32 v35, v29, v1
	v_fma_f16 v14, v14, v2, -v36
	v_fmac_f16_e32 v37, v30, v2
	v_fmac_f16_e32 v33, v15, v0
	;; [unrolled: 1-line block ×3, first 2 shown]
	v_fma_f16 v15, v5, v3, -v38
	v_add_f16_e32 v5, v11, v12
	v_add_f16_e32 v29, v13, v14
	;; [unrolled: 1-line block ×3, first 2 shown]
	v_sub_f16_e32 v30, v12, v13
	v_sub_f16_e32 v31, v15, v14
	v_add_f16_e32 v36, v12, v15
	v_add_f16_e32 v41, v28, v33
	v_add_f16_e32 v46, v33, v39
	v_sub_f16_e32 v32, v33, v39
	v_sub_f16_e32 v38, v13, v12
	;; [unrolled: 1-line block ×6, first 2 shown]
	v_add_f16_e32 v13, v5, v13
	v_fma_f16 v5, -0.5, v29, v11
	v_fma_f16 v29, -0.5, v42, v28
	v_sub_f16_e32 v34, v35, v37
	v_add_f16_e32 v48, v30, v31
	v_fmac_f16_e32 v11, -0.5, v36
	v_add_f16_e32 v30, v41, v35
	v_fmac_f16_e32 v28, -0.5, v46
	v_sub_f16_e32 v33, v35, v33
	v_add_f16_e32 v35, v12, v45
	v_add_f16_e32 v12, v13, v14
	v_fmamk_f16 v13, v32, 0x3b9c, v5
	v_fmamk_f16 v31, v43, 0xbb9c, v29
	v_sub_f16_e32 v40, v14, v15
	v_sub_f16_e32 v47, v37, v39
	v_fmamk_f16 v14, v34, 0xbb9c, v11
	v_fmac_f16_e32 v11, 0x3b9c, v34
	v_add_f16_e32 v37, v30, v37
	v_fmamk_f16 v30, v44, 0x3b9c, v28
	v_fmac_f16_e32 v28, 0xbb9c, v44
	v_fmac_f16_e32 v5, 0xbb9c, v32
	v_fmac_f16_e32 v29, 0x3b9c, v43
	v_fmac_f16_e32 v13, 0x38b4, v34
	v_fmac_f16_e32 v31, 0xb8b4, v44
	v_add_f16_e32 v36, v38, v40
	v_add_f16_e32 v33, v33, v47
	v_fmac_f16_e32 v14, 0x38b4, v32
	v_fmac_f16_e32 v11, 0xb8b4, v32
	;; [unrolled: 1-line block ×6, first 2 shown]
	v_add_f16_e32 v12, v12, v15
	v_add_f16_e32 v32, v37, v39
	v_fmac_f16_e32 v13, 0x34f2, v48
	v_fmac_f16_e32 v31, 0x34f2, v35
	;; [unrolled: 1-line block ×8, first 2 shown]
	v_pack_b32_f16 v15, v12, v32
	v_pack_b32_f16 v33, v13, v31
	;; [unrolled: 1-line block ×5, first 2 shown]
	ds_write2_b32 v21, v15, v33 offset1:10
	ds_write2_b32 v21, v34, v35 offset0:20 offset1:30
	ds_write_b32 v21, v36 offset:160
	s_waitcnt lgkmcnt(0)
	s_barrier
	buffer_gl0_inv
	s_and_saveexec_b32 s0, vcc_lo
	s_cbranch_execz .LBB0_9
; %bb.8:
	global_load_dword v15, v17, s[12:13] offset:200
	s_add_u32 s2, s12, 0xc8
	s_addc_u32 s3, s13, 0
	s_clause 0x8
	global_load_dword v43, v17, s[2:3] offset:20
	global_load_dword v44, v17, s[2:3] offset:40
	;; [unrolled: 1-line block ×9, first 2 shown]
	ds_read2_b32 v[33:34], v21 offset1:5
	ds_read2_b32 v[35:36], v21 offset0:10 offset1:15
	ds_read2_b32 v[37:38], v21 offset0:20 offset1:25
	;; [unrolled: 1-line block ×4, first 2 shown]
	s_waitcnt lgkmcnt(4)
	v_lshrrev_b32_e32 v52, 16, v33
	v_lshrrev_b32_e32 v53, 16, v34
	s_waitcnt lgkmcnt(3)
	v_lshrrev_b32_e32 v54, 16, v35
	v_lshrrev_b32_e32 v55, 16, v36
	;; [unrolled: 3-line block ×5, first 2 shown]
	s_waitcnt vmcnt(8)
	v_mul_f16_sdwa v64, v53, v43 dst_sel:DWORD dst_unused:UNUSED_PAD src0_sel:DWORD src1_sel:WORD_1
	v_mul_f16_sdwa v65, v34, v43 dst_sel:DWORD dst_unused:UNUSED_PAD src0_sel:DWORD src1_sel:WORD_1
	s_waitcnt vmcnt(7)
	v_mul_f16_sdwa v66, v54, v44 dst_sel:DWORD dst_unused:UNUSED_PAD src0_sel:DWORD src1_sel:WORD_1
	v_mul_f16_sdwa v67, v35, v44 dst_sel:DWORD dst_unused:UNUSED_PAD src0_sel:DWORD src1_sel:WORD_1
	;; [unrolled: 1-line block ×4, first 2 shown]
	s_waitcnt vmcnt(6)
	v_mul_f16_sdwa v68, v55, v45 dst_sel:DWORD dst_unused:UNUSED_PAD src0_sel:DWORD src1_sel:WORD_1
	v_mul_f16_sdwa v69, v36, v45 dst_sel:DWORD dst_unused:UNUSED_PAD src0_sel:DWORD src1_sel:WORD_1
	s_waitcnt vmcnt(5)
	v_mul_f16_sdwa v70, v56, v46 dst_sel:DWORD dst_unused:UNUSED_PAD src0_sel:DWORD src1_sel:WORD_1
	v_mul_f16_sdwa v71, v37, v46 dst_sel:DWORD dst_unused:UNUSED_PAD src0_sel:DWORD src1_sel:WORD_1
	;; [unrolled: 3-line block ×7, first 2 shown]
	v_fma_f16 v33, v33, v15, -v62
	v_fmac_f16_e32 v63, v52, v15
	v_fma_f16 v15, v34, v43, -v64
	v_fmac_f16_e32 v65, v53, v43
	;; [unrolled: 2-line block ×10, first 2 shown]
	v_pack_b32_f16 v33, v33, v63
	v_pack_b32_f16 v15, v15, v65
	;; [unrolled: 1-line block ×10, first 2 shown]
	ds_write2_b32 v21, v33, v15 offset1:5
	ds_write2_b32 v21, v34, v35 offset0:10 offset1:15
	ds_write2_b32 v21, v36, v37 offset0:20 offset1:25
	;; [unrolled: 1-line block ×4, first 2 shown]
.LBB0_9:
	s_or_b32 exec_lo, exec_lo, s0
	s_waitcnt lgkmcnt(0)
	s_barrier
	buffer_gl0_inv
	s_and_saveexec_b32 s0, vcc_lo
	s_cbranch_execz .LBB0_11
; %bb.10:
	ds_read2_b32 v[12:13], v21 offset1:5
	ds_read2_b32 v[14:15], v21 offset0:10 offset1:15
	ds_read2_b32 v[5:6], v21 offset0:20 offset1:25
	;; [unrolled: 1-line block ×4, first 2 shown]
	s_waitcnt lgkmcnt(4)
	v_lshrrev_b32_e32 v32, 16, v12
	v_lshrrev_b32_e32 v31, 16, v13
	s_waitcnt lgkmcnt(3)
	v_lshrrev_b32_e32 v30, 16, v14
	v_lshrrev_b32_e32 v28, 16, v15
	s_waitcnt lgkmcnt(2)
	v_lshrrev_b32_e32 v29, 16, v5
	s_waitcnt lgkmcnt(1)
	v_lshrrev_b32_e32 v24, 16, v7
	v_lshrrev_b32_e32 v26, 16, v8
	s_waitcnt lgkmcnt(0)
	v_lshrrev_b32_e32 v25, 16, v9
	v_lshrrev_b32_e32 v27, 16, v10
	v_mov_b32_e32 v11, v15
.LBB0_11:
	s_or_b32 exec_lo, exec_lo, s0
	s_barrier
	buffer_gl0_inv
	s_and_saveexec_b32 s0, vcc_lo
	s_cbranch_execz .LBB0_13
; %bb.12:
	v_sub_f16_e32 v33, v30, v29
	v_sub_f16_e32 v34, v25, v24
	v_add_f16_e32 v15, v29, v24
	v_add_f16_sdwa v36, v6, v26 dst_sel:DWORD dst_unused:UNUSED_PAD src0_sel:WORD_1 src1_sel:DWORD
	v_sub_f16_e32 v49, v29, v30
	v_sub_f16_e32 v50, v24, v25
	v_add_f16_e32 v33, v33, v34
	v_add_f16_e32 v34, v30, v25
	v_fma_f16 v15, -0.5, v15, v32
	v_add_f16_e32 v51, v28, v27
	v_add_f16_e32 v53, v11, v10
	;; [unrolled: 1-line block ×3, first 2 shown]
	v_fma_f16 v34, -0.5, v34, v32
	v_add_f16_e32 v32, v32, v30
	v_fma_f16 v36, -0.5, v36, v31
	v_sub_f16_e32 v41, v28, v27
	v_sub_f16_sdwa v42, v28, v6 dst_sel:DWORD dst_unused:UNUSED_PAD src0_sel:DWORD src1_sel:WORD_1
	v_sub_f16_e32 v45, v6, v8
	v_add_f16_e32 v49, v49, v50
	v_fma_f16 v50, -0.5, v51, v31
	v_fma_f16 v51, -0.5, v53, v13
	v_sub_f16_sdwa v53, v6, v28 dst_sel:DWORD dst_unused:UNUSED_PAD src0_sel:WORD_1 src1_sel:DWORD
	v_add_f16_e32 v28, v31, v28
	v_add_f16_e32 v31, v32, v29
	v_sub_f16_e32 v39, v11, v10
	v_fma_f16 v37, -0.5, v37, v13
	v_fmamk_f16 v56, v45, 0x3b9c, v50
	v_fmac_f16_e32 v50, 0xbb9c, v45
	v_add_f16_sdwa v28, v28, v6 dst_sel:DWORD dst_unused:UNUSED_PAD src0_sel:DWORD src1_sel:WORD_1
	v_add_f16_e32 v31, v31, v24
	v_sub_f16_e32 v35, v14, v9
	v_sub_f16_e32 v38, v11, v6
	;; [unrolled: 1-line block ×3, first 2 shown]
	v_fmamk_f16 v44, v39, 0xbb9c, v36
	v_sub_f16_e32 v46, v10, v8
	v_fmamk_f16 v47, v41, 0x3b9c, v37
	v_sub_f16_sdwa v48, v6, v26 dst_sel:DWORD dst_unused:UNUSED_PAD src0_sel:WORD_1 src1_sel:DWORD
	v_sub_f16_e32 v55, v26, v27
	v_fmac_f16_e32 v56, 0xb8b4, v39
	v_fmac_f16_e32 v50, 0x38b4, v39
	;; [unrolled: 1-line block ×4, first 2 shown]
	v_add_f16_e32 v26, v28, v26
	v_add_f16_e32 v28, v31, v25
	;; [unrolled: 1-line block ×4, first 2 shown]
	v_fmamk_f16 v40, v35, 0xbb9c, v15
	v_add_f16_e32 v42, v42, v43
	v_fmac_f16_e32 v44, 0xb8b4, v45
	v_sub_f16_e32 v43, v5, v7
	v_add_f16_e32 v38, v38, v46
	v_sub_f16_e32 v57, v6, v11
	v_sub_f16_e32 v58, v8, v10
	v_fmamk_f16 v59, v48, 0xbb9c, v51
	v_add_f16_e32 v53, v53, v55
	v_fmac_f16_e32 v51, 0x3b9c, v48
	v_fmac_f16_e32 v37, 0xb8b4, v48
	;; [unrolled: 1-line block ×4, first 2 shown]
	v_fma_f16 v31, -0.5, v31, v12
	v_sub_f16_e32 v25, v30, v25
	v_sub_f16_e32 v24, v29, v24
	v_fma_f16 v29, -0.5, v39, v12
	v_add_f16_e32 v12, v12, v14
	v_add_f16_e32 v11, v13, v11
	v_fmac_f16_e32 v47, 0x38b4, v48
	v_fmac_f16_e32 v44, 0x34f2, v42
	;; [unrolled: 1-line block ×3, first 2 shown]
	v_fmamk_f16 v52, v43, 0x3b9c, v34
	v_add_f16_e32 v55, v57, v58
	v_fmac_f16_e32 v59, 0x38b4, v41
	v_fmac_f16_e32 v56, 0x34f2, v53
	;; [unrolled: 1-line block ×8, first 2 shown]
	v_sub_f16_e32 v30, v14, v5
	v_sub_f16_e32 v39, v9, v7
	v_fmamk_f16 v42, v25, 0x3b9c, v31
	v_sub_f16_e32 v43, v5, v14
	v_sub_f16_e32 v45, v7, v9
	v_fmamk_f16 v48, v24, 0xbb9c, v29
	v_fmac_f16_e32 v29, 0x3b9c, v24
	v_fmac_f16_e32 v31, 0xbb9c, v25
	v_add_f16_e32 v5, v12, v5
	v_add_f16_e32 v6, v11, v6
	v_mul_f16_e32 v46, 0xba79, v44
	v_fmac_f16_e32 v52, 0xb8b4, v35
	v_fmac_f16_e32 v59, 0x34f2, v55
	v_mul_f16_e32 v57, 0xb4f2, v56
	v_fmac_f16_e32 v34, 0x38b4, v35
	v_fmac_f16_e32 v51, 0x34f2, v55
	v_mul_f16_e32 v41, 0x34f2, v50
	v_mul_f16_e32 v32, 0x38b4, v37
	v_add_f16_e32 v30, v30, v39
	v_mul_f16_e32 v39, 0xb8b4, v44
	v_add_f16_e32 v43, v43, v45
	v_fmac_f16_e32 v48, 0x38b4, v25
	v_mul_f16_e32 v44, 0xbb9c, v56
	v_fmac_f16_e32 v29, 0xb8b4, v25
	v_mul_f16_e32 v11, 0xbb9c, v50
	;; [unrolled: 2-line block ×3, first 2 shown]
	v_add_f16_e32 v5, v5, v7
	v_add_f16_e32 v6, v6, v8
	v_fmac_f16_e32 v47, 0x34f2, v38
	v_fmac_f16_e32 v42, 0x38b4, v24
	;; [unrolled: 1-line block ×8, first 2 shown]
	v_add_f16_e32 v26, v26, v27
	v_fmac_f16_e32 v48, 0x34f2, v43
	v_fmac_f16_e32 v44, 0xb4f2, v59
	v_fmac_f16_e32 v29, 0x34f2, v43
	v_fmac_f16_e32 v11, 0x34f2, v51
	v_fmac_f16_e32 v31, 0x34f2, v30
	v_fmac_f16_e32 v12, 0x3a79, v37
	v_add_f16_e32 v5, v5, v9
	v_add_f16_e32 v6, v6, v10
	v_fmac_f16_e32 v40, 0x34f2, v33
	v_fmac_f16_e32 v46, 0x38b4, v47
	;; [unrolled: 1-line block ×4, first 2 shown]
	v_sub_f16_e32 v35, v15, v32
	v_sub_f16_e32 v38, v28, v26
	v_sub_f16_e32 v9, v29, v11
	v_sub_f16_e32 v24, v31, v12
	v_add_f16_e32 v7, v52, v57
	v_add_f16_e32 v8, v34, v41
	;; [unrolled: 1-line block ×4, first 2 shown]
	v_and_b32_e32 v22, 0xffff, v22
	v_add_f16_e32 v28, v48, v44
	v_add_f16_e32 v11, v29, v11
	;; [unrolled: 1-line block ×4, first 2 shown]
	v_sub_f16_e32 v33, v34, v41
	v_sub_f16_e32 v25, v5, v6
	v_add_f16_e32 v30, v40, v46
	v_add_f16_e32 v26, v42, v39
	v_sub_f16_e32 v54, v40, v46
	v_sub_f16_e32 v27, v52, v57
	;; [unrolled: 1-line block ×4, first 2 shown]
	v_lshl_add_u32 v20, v22, 2, v20
	v_pack_b32_f16 v6, v28, v7
	v_pack_b32_f16 v5, v11, v8
	;; [unrolled: 1-line block ×10, first 2 shown]
	ds_write2_b64 v20, v[7:8], v[5:6] offset1:1
	ds_write2_b64 v20, v[11:12], v[9:10] offset0:2 offset1:3
	ds_write_b64 v20, v[13:14] offset:32
.LBB0_13:
	s_or_b32 exec_lo, exec_lo, s0
	s_waitcnt lgkmcnt(0)
	s_barrier
	buffer_gl0_inv
	ds_read2_b32 v[5:6], v23 offset1:10
	ds_read2_b32 v[7:8], v23 offset0:20 offset1:30
	ds_read_b32 v9, v23 offset:160
	s_waitcnt lgkmcnt(2)
	v_lshrrev_b32_e32 v11, 16, v6
	s_waitcnt lgkmcnt(1)
	v_lshrrev_b32_e32 v12, 16, v7
	v_lshrrev_b32_e32 v13, 16, v8
	s_waitcnt lgkmcnt(0)
	v_lshrrev_b32_e32 v14, 16, v9
	v_mul_f16_sdwa v15, v0, v6 dst_sel:DWORD dst_unused:UNUSED_PAD src0_sel:WORD_1 src1_sel:DWORD
	v_mul_f16_sdwa v20, v1, v7 dst_sel:DWORD dst_unused:UNUSED_PAD src0_sel:WORD_1 src1_sel:DWORD
	;; [unrolled: 1-line block ×5, first 2 shown]
	v_fma_f16 v11, v0, v11, -v15
	v_mul_f16_sdwa v15, v1, v12 dst_sel:DWORD dst_unused:UNUSED_PAD src0_sel:WORD_1 src1_sel:DWORD
	v_fma_f16 v12, v1, v12, -v20
	v_mul_f16_sdwa v20, v2, v13 dst_sel:DWORD dst_unused:UNUSED_PAD src0_sel:WORD_1 src1_sel:DWORD
	;; [unrolled: 2-line block ×3, first 2 shown]
	v_fmac_f16_e32 v24, v0, v6
	v_fmac_f16_e32 v15, v1, v7
	;; [unrolled: 1-line block ×3, first 2 shown]
	v_fma_f16 v14, v3, v14, -v23
	v_fmac_f16_e32 v22, v3, v9
	v_lshrrev_b32_e32 v10, 16, v5
	v_sub_f16_e32 v1, v12, v13
	v_add_f16_e32 v7, v15, v20
	v_sub_f16_e32 v0, v11, v14
	v_add_f16_e32 v23, v24, v22
	v_add_f16_e32 v6, v5, v24
	v_sub_f16_e32 v8, v24, v15
	v_sub_f16_e32 v9, v22, v20
	v_sub_f16_e32 v25, v15, v24
	v_sub_f16_e32 v26, v20, v22
	v_fma_f16 v7, -0.5, v7, v5
	v_fmac_f16_e32 v5, -0.5, v23
	v_add_f16_e32 v2, v10, v11
	v_add_f16_e32 v8, v8, v9
	;; [unrolled: 1-line block ×3, first 2 shown]
	v_fmamk_f16 v9, v0, 0xbb9c, v7
	v_fmac_f16_e32 v7, 0x3b9c, v0
	v_fmamk_f16 v25, v1, 0x3b9c, v5
	v_fmac_f16_e32 v5, 0xbb9c, v1
	v_add_f16_e32 v3, v12, v13
	v_add_f16_e32 v6, v6, v15
	v_fmac_f16_e32 v9, 0xb8b4, v1
	v_fmac_f16_e32 v7, 0x38b4, v1
	v_fmac_f16_e32 v25, 0xb8b4, v0
	v_fmac_f16_e32 v5, 0x38b4, v0
	v_add_f16_e32 v0, v2, v12
	v_add_f16_e32 v2, v11, v14
	v_fma_f16 v3, -0.5, v3, v10
	v_sub_f16_e32 v24, v24, v22
	v_add_f16_e32 v6, v6, v20
	v_fmac_f16_e32 v9, 0x34f2, v8
	v_fmac_f16_e32 v7, 0x34f2, v8
	v_sub_f16_e32 v8, v15, v20
	v_fmac_f16_e32 v10, -0.5, v2
	v_add_f16_e32 v1, v6, v22
	v_fmamk_f16 v6, v24, 0x3b9c, v3
	v_sub_f16_e32 v2, v11, v12
	v_sub_f16_e32 v15, v14, v13
	v_fmamk_f16 v20, v8, 0xbb9c, v10
	v_sub_f16_e32 v11, v12, v11
	v_sub_f16_e32 v12, v13, v14
	v_fmac_f16_e32 v10, 0x3b9c, v8
	v_fmac_f16_e32 v3, 0xbb9c, v24
	v_add_f16_e32 v0, v0, v13
	v_fmac_f16_e32 v6, 0x38b4, v8
	v_add_f16_e32 v2, v2, v15
	;; [unrolled: 2-line block ×3, first 2 shown]
	v_fmac_f16_e32 v10, 0xb8b4, v24
	v_fmac_f16_e32 v3, 0xb8b4, v8
	v_add_f16_e32 v0, v0, v14
	v_fmac_f16_e32 v6, 0x34f2, v2
	v_fmac_f16_e32 v25, 0x34f2, v23
	;; [unrolled: 1-line block ×6, first 2 shown]
	v_pack_b32_f16 v0, v1, v0
	v_pack_b32_f16 v1, v9, v6
	;; [unrolled: 1-line block ×5, first 2 shown]
	ds_write2_b32 v21, v0, v1 offset1:10
	ds_write2_b32 v21, v2, v5 offset0:20 offset1:30
	ds_write_b32 v21, v3 offset:160
	s_waitcnt lgkmcnt(0)
	s_barrier
	buffer_gl0_inv
	s_and_b32 exec_lo, exec_lo, vcc_lo
	s_cbranch_execz .LBB0_15
; %bb.14:
	s_clause 0x5
	global_load_dword v5, v17, s[12:13]
	global_load_dword v7, v17, s[12:13] offset:20
	global_load_dword v12, v17, s[12:13] offset:40
	;; [unrolled: 1-line block ×5, first 2 shown]
	ds_read_b32 v27, v21
	v_lshl_add_u32 v6, v19, 2, v17
	v_mad_u64_u32 v[14:15], null, s20, v18, 0
	v_mad_u64_u32 v[2:3], null, s22, v4, 0
	ds_read2_b32 v[19:20], v6 offset0:5 offset1:10
	ds_read2_b32 v[21:22], v6 offset0:15 offset1:20
	;; [unrolled: 1-line block ×3, first 2 shown]
	s_mov_b32 s24, 0x47ae147b
	v_mov_b32_e32 v8, v15
	s_mov_b32 s25, 0x3f947ae1
	v_mad_u64_u32 v[3:4], null, s23, v4, v[3:4]
	s_mul_i32 s0, s21, 20
	v_mad_u64_u32 v[23:24], null, s21, v18, v[8:9]
	s_clause 0x3
	global_load_dword v4, v17, s[12:13] offset:120
	global_load_dword v9, v17, s[12:13] offset:140
	;; [unrolled: 1-line block ×4, first 2 shown]
	s_mul_hi_u32 s22, s20, 20
	s_mul_i32 s19, s20, 20
	s_waitcnt lgkmcnt(3)
	v_lshrrev_b32_e32 v17, 16, v27
	v_lshlrev_b64 v[2:3], 2, v[2:3]
	s_add_i32 s22, s22, s0
	v_mov_b32_e32 v15, v23
	ds_read_b32 v11, v6 offset:180
	s_waitcnt lgkmcnt(3)
	v_lshrrev_b32_e32 v23, 16, v20
	v_lshrrev_b32_e32 v18, 16, v19
	s_waitcnt lgkmcnt(2)
	v_lshrrev_b32_e32 v24, 16, v21
	v_lshrrev_b32_e32 v28, 16, v22
	s_waitcnt lgkmcnt(1)
	v_lshrrev_b32_e32 v29, 16, v0
	v_lshlrev_b64 v[14:15], 2, v[14:15]
	v_add_co_u32 v2, vcc_lo, s6, v2
	v_add_co_ci_u32_e32 v3, vcc_lo, s7, v3, vcc_lo
	v_add_co_u32 v14, vcc_lo, v2, v14
	v_add_co_ci_u32_e32 v15, vcc_lo, v3, v15, vcc_lo
	s_waitcnt vmcnt(9)
	v_mul_f16_sdwa v30, v17, v5 dst_sel:DWORD dst_unused:UNUSED_PAD src0_sel:DWORD src1_sel:WORD_1
	v_mul_f16_sdwa v31, v27, v5 dst_sel:DWORD dst_unused:UNUSED_PAD src0_sel:DWORD src1_sel:WORD_1
	s_waitcnt vmcnt(7)
	v_mul_f16_sdwa v34, v23, v12 dst_sel:DWORD dst_unused:UNUSED_PAD src0_sel:DWORD src1_sel:WORD_1
	v_mul_f16_sdwa v35, v20, v12 dst_sel:DWORD dst_unused:UNUSED_PAD src0_sel:DWORD src1_sel:WORD_1
	;; [unrolled: 1-line block ×3, first 2 shown]
	v_fmac_f16_e32 v30, v27, v5
	s_waitcnt vmcnt(6)
	v_mul_f16_sdwa v36, v24, v13 dst_sel:DWORD dst_unused:UNUSED_PAD src0_sel:DWORD src1_sel:WORD_1
	v_mul_f16_sdwa v37, v21, v13 dst_sel:DWORD dst_unused:UNUSED_PAD src0_sel:DWORD src1_sel:WORD_1
	v_fma_f16 v5, v5, v17, -v31
	v_fmac_f16_e32 v34, v20, v12
	v_fma_f16 v17, v12, v23, -v35
	v_cvt_f32_f16_e32 v12, v30
	v_mul_f16_sdwa v33, v19, v7 dst_sel:DWORD dst_unused:UNUSED_PAD src0_sel:DWORD src1_sel:WORD_1
	s_waitcnt vmcnt(5)
	v_mul_f16_sdwa v38, v28, v25 dst_sel:DWORD dst_unused:UNUSED_PAD src0_sel:DWORD src1_sel:WORD_1
	v_mul_f16_sdwa v39, v22, v25 dst_sel:DWORD dst_unused:UNUSED_PAD src0_sel:DWORD src1_sel:WORD_1
	v_fmac_f16_e32 v32, v19, v7
	v_fmac_f16_e32 v36, v21, v13
	v_fma_f16 v19, v13, v24, -v37
	v_cvt_f32_f16_e32 v5, v5
	v_cvt_f64_f32_e32 v[12:13], v12
	s_waitcnt vmcnt(4)
	v_mul_f16_sdwa v40, v29, v26 dst_sel:DWORD dst_unused:UNUSED_PAD src0_sel:DWORD src1_sel:WORD_1
	v_mul_f16_sdwa v41, v0, v26 dst_sel:DWORD dst_unused:UNUSED_PAD src0_sel:DWORD src1_sel:WORD_1
	v_fma_f16 v7, v7, v18, -v33
	v_fmac_f16_e32 v38, v22, v25
	v_fma_f16 v20, v25, v28, -v39
	v_cvt_f32_f16_e32 v21, v32
	v_cvt_f32_f16_e32 v25, v17
	v_cvt_f64_f32_e32 v[17:18], v5
	v_fmac_f16_e32 v40, v0, v26
	v_fma_f16 v0, v26, v29, -v41
	v_cvt_f32_f16_e32 v7, v7
	v_cvt_f32_f16_e32 v29, v19
	;; [unrolled: 1-line block ×3, first 2 shown]
	v_cvt_f64_f32_e32 v[19:20], v21
	v_cvt_f32_f16_e32 v23, v34
	v_cvt_f64_f32_e32 v[21:22], v7
	v_cvt_f32_f16_e32 v5, v36
	;; [unrolled: 2-line block ×3, first 2 shown]
	v_cvt_f64_f32_e32 v[23:24], v23
	v_cvt_f64_f32_e32 v[29:30], v29
	v_mul_f64 v[12:13], v[12:13], s[24:25]
	v_cvt_f64_f32_e32 v[27:28], v5
	v_add_co_u32 v39, vcc_lo, v14, s19
	v_cvt_f32_f16_e32 v7, v40
	v_add_co_ci_u32_e32 v40, vcc_lo, s22, v15, vcc_lo
	v_cvt_f32_f16_e32 v0, v0
	v_mul_f64 v[17:18], v[17:18], s[24:25]
	v_cvt_f64_f32_e32 v[31:32], v31
	v_add_co_u32 v41, vcc_lo, v39, s19
	v_add_co_ci_u32_e32 v42, vcc_lo, s22, v40, vcc_lo
	v_mul_f64 v[19:20], v[19:20], s[24:25]
	v_cvt_f64_f32_e32 v[37:38], v0
	v_mul_f64 v[21:22], v[21:22], s[24:25]
	v_cvt_f64_f32_e32 v[33:34], v33
	v_add_co_u32 v43, vcc_lo, v41, s19
	v_mul_f64 v[23:24], v[23:24], s[24:25]
	v_mul_f64 v[25:26], v[25:26], s[24:25]
	v_and_or_b32 v0, 0x1ff, v13, v12
	v_add_co_ci_u32_e32 v44, vcc_lo, s22, v42, vcc_lo
	v_cvt_f64_f32_e32 v[35:36], v7
	v_lshrrev_b32_e32 v5, 8, v13
	v_bfe_u32 v7, v13, 20, 11
	v_lshrrev_b32_e32 v12, 16, v13
	v_cmp_ne_u32_e32 vcc_lo, 0, v0
	v_and_or_b32 v13, 0x1ff, v18, v17
	v_mul_f64 v[27:28], v[27:28], s[24:25]
	v_mul_f64 v[29:30], v[29:30], s[24:25]
	;; [unrolled: 1-line block ×3, first 2 shown]
	v_cndmask_b32_e64 v0, 0, 1, vcc_lo
	v_cmp_ne_u32_e32 vcc_lo, 0, v13
	v_and_or_b32 v19, 0x1ff, v20, v19
	v_lshrrev_b32_e32 v17, 8, v18
	v_and_or_b32 v21, 0x1ff, v22, v21
	v_mul_f64 v[33:34], v[33:34], s[24:25]
	v_cndmask_b32_e64 v13, 0, 1, vcc_lo
	v_cmp_ne_u32_e32 vcc_lo, 0, v19
	v_and_or_b32 v23, 0x1ff, v24, v23
	v_and_or_b32 v25, 0x1ff, v26, v25
	v_bfe_u32 v45, v18, 20, 11
	v_and_or_b32 v0, 0xffe, v5, v0
	v_cndmask_b32_e64 v19, 0, 1, vcc_lo
	v_cmp_ne_u32_e32 vcc_lo, 0, v21
	v_lshrrev_b32_e32 v46, 8, v20
	v_bfe_u32 v47, v20, 20, 11
	v_bfe_u32 v49, v22, 20, 11
	v_sub_nc_u32_e32 v62, 0x3f1, v7
	v_cndmask_b32_e64 v21, 0, 1, vcc_lo
	v_cmp_ne_u32_e32 vcc_lo, 0, v23
	v_and_or_b32 v27, 0x1ff, v28, v27
	v_and_or_b32 v29, 0x1ff, v30, v29
	v_and_or_b32 v31, 0x1ff, v32, v31
	v_add_nc_u32_e32 v7, 0xfffffc10, v7
	v_cndmask_b32_e64 v23, 0, 1, vcc_lo
	v_cmp_ne_u32_e32 vcc_lo, 0, v25
	v_sub_nc_u32_e32 v63, 0x3f1, v45
	v_and_or_b32 v33, 0x1ff, v34, v33
	v_and_or_b32 v13, 0xffe, v17, v13
	v_lshrrev_b32_e32 v48, 8, v22
	v_cndmask_b32_e64 v25, 0, 1, vcc_lo
	v_cmp_ne_u32_e32 vcc_lo, 0, v27
	v_bfe_u32 v51, v24, 20, 11
	v_bfe_u32 v53, v26, 20, 11
	v_add_nc_u32_e32 v45, 0xfffffc10, v45
	v_sub_nc_u32_e32 v64, 0x3f1, v47
	v_cndmask_b32_e64 v27, 0, 1, vcc_lo
	v_cmp_ne_u32_e32 vcc_lo, 0, v29
	v_sub_nc_u32_e32 v65, 0x3f1, v49
	v_med3_i32 v5, v62, 0, 13
	v_med3_i32 v17, v63, 0, 13
	v_and_or_b32 v19, 0xffe, v46, v19
	v_cndmask_b32_e64 v29, 0, 1, vcc_lo
	v_cmp_ne_u32_e32 vcc_lo, 0, v31
	v_or_b32_e32 v62, 0x1000, v0
	v_lshl_or_b32 v63, v7, 12, v0
	v_lshrrev_b32_e32 v50, 8, v24
	v_lshrrev_b32_e32 v52, 8, v26
	v_cndmask_b32_e64 v31, 0, 1, vcc_lo
	v_cmp_ne_u32_e32 vcc_lo, 0, v33
	v_bfe_u32 v55, v28, 20, 11
	v_bfe_u32 v57, v30, 20, 11
	v_add_nc_u32_e32 v47, 0xfffffc10, v47
	v_sub_nc_u32_e32 v66, 0x3f1, v51
	v_cndmask_b32_e64 v33, 0, 1, vcc_lo
	v_cmp_ne_u32_e32 vcc_lo, 0, v0
	v_sub_nc_u32_e32 v67, 0x3f1, v53
	v_med3_i32 v46, v64, 0, 13
	v_and_or_b32 v21, 0xffe, v48, v21
	v_med3_i32 v48, v65, 0, 13
	v_cndmask_b32_e64 v0, 0, 1, vcc_lo
	v_cmp_ne_u32_e32 vcc_lo, 0, v13
	v_or_b32_e32 v64, 0x1000, v13
	v_lshl_or_b32 v65, v45, 12, v13
	v_lshrrev_b32_e32 v54, 8, v28
	v_lshrrev_b32_e32 v56, 8, v30
	v_cndmask_b32_e64 v13, 0, 1, vcc_lo
	v_cmp_ne_u32_e32 vcc_lo, 0, v19
	v_bfe_u32 v59, v32, 20, 11
	v_bfe_u32 v61, v34, 20, 11
	v_add_nc_u32_e32 v49, 0xfffffc10, v49
	v_sub_nc_u32_e32 v68, 0x3f1, v55
	v_sub_nc_u32_e32 v69, 0x3f1, v57
	v_and_or_b32 v23, 0xffe, v50, v23
	v_med3_i32 v50, v66, 0, 13
	v_and_or_b32 v25, 0xffe, v52, v25
	v_med3_i32 v52, v67, 0, 13
	v_or_b32_e32 v66, 0x1000, v19
	v_lshl_or_b32 v67, v47, 12, v19
	v_cndmask_b32_e64 v19, 0, 1, vcc_lo
	v_cmp_ne_u32_e32 vcc_lo, 0, v21
	v_lshrrev_b32_e32 v58, 8, v32
	v_lshrrev_b32_e32 v60, 8, v34
	v_add_nc_u32_e32 v51, 0xfffffc10, v51
	v_sub_nc_u32_e32 v70, 0x3f1, v59
	v_sub_nc_u32_e32 v71, 0x3f1, v61
	v_and_or_b32 v27, 0xffe, v54, v27
	v_med3_i32 v54, v68, 0, 13
	v_and_or_b32 v29, 0xffe, v56, v29
	v_med3_i32 v56, v69, 0, 13
	v_or_b32_e32 v68, 0x1000, v21
	v_lshl_or_b32 v69, v49, 12, v21
	v_cndmask_b32_e64 v21, 0, 1, vcc_lo
	v_cmp_ne_u32_e32 vcc_lo, 0, v23
	v_add_nc_u32_e32 v53, 0xfffffc10, v53
	v_and_or_b32 v31, 0xffe, v58, v31
	v_med3_i32 v58, v70, 0, 13
	v_and_or_b32 v33, 0xffe, v60, v33
	v_med3_i32 v60, v71, 0, 13
	v_or_b32_e32 v70, 0x1000, v23
	v_lshl_or_b32 v71, v51, 12, v23
	v_cndmask_b32_e64 v23, 0, 1, vcc_lo
	v_cmp_ne_u32_e32 vcc_lo, 0, v25
	v_add_nc_u32_e32 v55, 0xfffffc10, v55
	v_or_b32_e32 v72, 0x1000, v25
	v_lshl_or_b32 v73, v53, 12, v25
	v_add_nc_u32_e32 v57, 0xfffffc10, v57
	v_cndmask_b32_e64 v25, 0, 1, vcc_lo
	v_cmp_ne_u32_e32 vcc_lo, 0, v27
	v_or_b32_e32 v74, 0x1000, v27
	v_lshl_or_b32 v75, v55, 12, v27
	v_lshrrev_b32_e32 v82, v5, v62
	v_lshrrev_b32_e32 v84, v46, v66
	v_cndmask_b32_e64 v27, 0, 1, vcc_lo
	v_cmp_ne_u32_e32 vcc_lo, 0, v29
	v_add_nc_u32_e32 v59, 0xfffffc10, v59
	v_or_b32_e32 v76, 0x1000, v29
	v_lshl_or_b32 v77, v57, 12, v29
	v_lshrrev_b32_e32 v83, v17, v64
	v_cndmask_b32_e64 v29, 0, 1, vcc_lo
	v_cmp_ne_u32_e32 vcc_lo, 0, v31
	v_lshrrev_b32_e32 v85, v48, v68
	v_lshlrev_b32_e32 v46, v46, v84
	v_lshlrev_b32_e32 v5, v5, v82
	v_or_b32_e32 v78, 0x1000, v31
	v_lshl_or_b32 v79, v59, 12, v31
	v_cndmask_b32_e64 v31, 0, 1, vcc_lo
	v_lshrrev_b32_e32 v86, v50, v70
	v_cmp_ne_u32_e32 vcc_lo, v46, v66
	v_cmp_ne_u32_e64 s0, v5, v62
	v_lshlrev_b32_e32 v17, v17, v83
	v_lshlrev_b32_e32 v48, v48, v85
	v_lshrrev_b32_e32 v87, v52, v72
	v_lshlrev_b32_e32 v50, v50, v86
	v_cndmask_b32_e64 v62, 0, 1, s0
	v_cmp_ne_u32_e64 s0, v17, v64
	v_cndmask_b32_e64 v64, 0, 1, vcc_lo
	v_cmp_ne_u32_e32 vcc_lo, v48, v68
	v_lshrrev_b32_e32 v88, v54, v74
	v_lshlrev_b32_e32 v52, v52, v87
	v_lshrrev_b32_e32 v46, v56, v76
	v_or_b32_e32 v80, 0x1000, v33
	v_cndmask_b32_e64 v48, 0, 1, vcc_lo
	v_cmp_ne_u32_e32 vcc_lo, v50, v70
	v_lshlrev_b32_e32 v54, v54, v88
	v_lshrrev_b32_e32 v66, v58, v78
	v_lshlrev_b32_e32 v56, v56, v46
	v_lshrrev_b32_e32 v5, v60, v80
	v_cndmask_b32_e64 v50, 0, 1, vcc_lo
	v_cmp_ne_u32_e32 vcc_lo, v52, v72
	v_lshlrev_b32_e32 v58, v58, v66
	v_cndmask_b32_e64 v17, 0, 1, s0
	v_lshlrev_b32_e32 v60, v60, v5
	v_or_b32_e32 v62, v82, v62
	v_cndmask_b32_e64 v52, 0, 1, vcc_lo
	v_cmp_ne_u32_e32 vcc_lo, v54, v74
	v_or_b32_e32 v17, v83, v17
	v_or_b32_e32 v64, v84, v64
	;; [unrolled: 1-line block ×4, first 2 shown]
	v_cndmask_b32_e64 v54, 0, 1, vcc_lo
	v_cmp_ne_u32_e32 vcc_lo, v56, v76
	v_or_b32_e32 v52, v87, v52
	v_add_nc_u32_e32 v61, 0xfffffc10, v61
	v_lshl_or_b32 v0, v0, 9, 0x7c00
	v_or_b32_e32 v54, v88, v54
	v_cndmask_b32_e64 v56, 0, 1, vcc_lo
	v_cmp_ne_u32_e32 vcc_lo, v58, v78
	v_lshl_or_b32 v81, v61, 12, v33
	v_lshl_or_b32 v13, v13, 9, 0x7c00
	;; [unrolled: 1-line block ×3, first 2 shown]
	v_or_b32_e32 v46, v46, v56
	v_cndmask_b32_e64 v58, 0, 1, vcc_lo
	v_cmp_ne_u32_e32 vcc_lo, v60, v80
	v_lshl_or_b32 v21, v21, 9, 0x7c00
	v_mul_f64 v[35:36], v[35:36], s[24:25]
	v_lshl_or_b32 v23, v23, 9, 0x7c00
	v_or_b32_e32 v56, v66, v58
	v_cndmask_b32_e64 v60, 0, 1, vcc_lo
	v_cmp_gt_i32_e32 vcc_lo, 1, v7
	v_lshl_or_b32 v25, v25, 9, 0x7c00
	v_lshrrev_b32_e32 v20, 16, v20
	v_lshl_or_b32 v27, v27, 9, 0x7c00
	v_or_b32_e32 v5, v5, v60
	v_cndmask_b32_e32 v58, v63, v62, vcc_lo
	v_cmp_gt_i32_e32 vcc_lo, 1, v45
	v_lshrrev_b32_e32 v22, 16, v22
	v_lshrrev_b32_e32 v24, 16, v24
	;; [unrolled: 1-line block ×3, first 2 shown]
	v_and_b32_e32 v62, 7, v58
	v_cndmask_b32_e32 v17, v65, v17, vcc_lo
	v_cmp_gt_i32_e32 vcc_lo, 1, v47
	v_lshrrev_b32_e32 v58, 2, v58
	v_lshl_or_b32 v29, v29, 9, 0x7c00
	v_cmp_eq_u32_e64 s0, 3, v62
	v_and_b32_e32 v63, 7, v17
	v_cndmask_b32_e32 v60, v67, v64, vcc_lo
	v_cmp_gt_i32_e32 vcc_lo, 1, v49
	v_lshrrev_b32_e32 v17, 2, v17
	v_lshrrev_b32_e32 v26, 16, v26
	v_cmp_lt_i32_e64 s1, 5, v63
	v_and_b32_e32 v64, 7, v60
	v_cndmask_b32_e32 v48, v69, v48, vcc_lo
	v_cmp_gt_i32_e32 vcc_lo, 1, v51
	v_cmp_eq_u32_e64 s2, 3, v63
	v_lshrrev_b32_e32 v60, 2, v60
	v_cmp_lt_i32_e64 s3, 5, v64
	v_and_b32_e32 v65, 7, v48
	v_cndmask_b32_e32 v50, v71, v50, vcc_lo
	v_cmp_gt_i32_e32 vcc_lo, 1, v53
	v_cmp_eq_u32_e64 s4, 3, v64
	;; [unrolled: 6-line block ×6, first 2 shown]
	v_lshrrev_b32_e32 v46, 2, v46
	v_cmp_lt_i32_e64 s13, 5, v69
	v_and_b32_e32 v70, 7, v56
	v_cndmask_b32_e32 v5, v81, v5, vcc_lo
	v_cmp_lt_i32_e32 vcc_lo, 5, v62
	v_cmp_eq_u32_e64 s14, 3, v69
	v_lshrrev_b32_e32 v56, 2, v56
	v_cmp_lt_i32_e64 s15, 5, v70
	v_and_b32_e32 v71, 7, v5
	s_or_b32 vcc_lo, s0, vcc_lo
	v_cmp_eq_u32_e64 s16, 3, v70
	v_add_co_ci_u32_e32 v58, vcc_lo, 0, v58, vcc_lo
	s_or_b32 vcc_lo, s2, s1
	v_cmp_lt_i32_e64 s17, 5, v71
	v_add_co_ci_u32_e32 v17, vcc_lo, 0, v17, vcc_lo
	s_or_b32 vcc_lo, s4, s3
	v_cmp_eq_u32_e64 s18, 3, v71
	v_add_co_ci_u32_e32 v60, vcc_lo, 0, v60, vcc_lo
	s_or_b32 vcc_lo, s6, s5
	v_lshrrev_b32_e32 v5, 2, v5
	v_add_co_ci_u32_e32 v48, vcc_lo, 0, v48, vcc_lo
	s_or_b32 vcc_lo, s8, s7
	v_and_or_b32 v35, 0x1ff, v36, v35
	v_add_co_ci_u32_e32 v50, vcc_lo, 0, v50, vcc_lo
	s_or_b32 vcc_lo, s10, s9
	v_lshl_or_b32 v31, v31, 9, 0x7c00
	v_add_co_ci_u32_e32 v52, vcc_lo, 0, v52, vcc_lo
	s_or_b32 vcc_lo, s12, s11
	v_mul_f64 v[37:38], v[37:38], s[24:25]
	v_add_co_ci_u32_e32 v54, vcc_lo, 0, v54, vcc_lo
	s_or_b32 vcc_lo, s14, s13
	v_lshrrev_b32_e32 v28, 16, v28
	v_add_co_ci_u32_e32 v46, vcc_lo, 0, v46, vcc_lo
	s_or_b32 vcc_lo, s16, s15
	v_lshrrev_b32_e32 v30, 16, v30
	;; [unrolled: 3-line block ×3, first 2 shown]
	v_add_co_ci_u32_e32 v5, vcc_lo, 0, v5, vcc_lo
	v_cmp_gt_i32_e32 vcc_lo, 31, v7
	v_cndmask_b32_e32 v58, 0x7c00, v58, vcc_lo
	v_cmp_gt_i32_e32 vcc_lo, 31, v45
	v_cndmask_b32_e32 v17, 0x7c00, v17, vcc_lo
	;; [unrolled: 2-line block ×9, first 2 shown]
	v_cmp_eq_u32_e32 vcc_lo, 0x40f, v7
	v_cndmask_b32_e32 v0, v58, v0, vcc_lo
	v_cmp_eq_u32_e32 vcc_lo, 0x40f, v45
	v_and_or_b32 v0, 0x8000, v12, v0
	v_cndmask_b32_e32 v7, v17, v13, vcc_lo
	v_cmp_eq_u32_e32 vcc_lo, 0x40f, v47
	v_and_b32_e32 v0, 0xffff, v0
	v_and_or_b32 v7, 0x8000, v18, v7
	v_cndmask_b32_e32 v13, v60, v19, vcc_lo
	v_cmp_eq_u32_e32 vcc_lo, 0x40f, v49
	v_lshl_or_b32 v0, v7, 16, v0
	v_and_or_b32 v12, 0x8000, v20, v13
	v_cndmask_b32_e32 v17, v48, v21, vcc_lo
	v_cmp_eq_u32_e32 vcc_lo, 0x40f, v51
	v_and_b32_e32 v12, 0xffff, v12
	v_and_or_b32 v13, 0x8000, v22, v17
	v_cndmask_b32_e32 v19, v50, v23, vcc_lo
	v_cmp_eq_u32_e32 vcc_lo, 0x40f, v53
	v_and_or_b32 v22, 0x1ff, v38, v37
	v_lshl_or_b32 v7, v13, 16, v12
	v_and_or_b32 v17, 0x8000, v24, v19
	v_cndmask_b32_e32 v21, v52, v25, vcc_lo
	v_cmp_eq_u32_e32 vcc_lo, 0x40f, v55
	v_and_b32_e32 v17, 0xffff, v17
	v_and_or_b32 v18, 0x8000, v26, v21
	v_cndmask_b32_e32 v23, v54, v27, vcc_lo
	v_cmp_eq_u32_e32 vcc_lo, 0x40f, v57
	v_lshl_or_b32 v12, v18, 16, v17
	global_store_dword v[14:15], v0, off
	global_store_dword v[39:40], v7, off
	;; [unrolled: 1-line block ×3, first 2 shown]
	v_cndmask_b32_e32 v25, v46, v29, vcc_lo
	v_cmp_eq_u32_e32 vcc_lo, 0x40f, v59
	v_lshrrev_b32_e32 v18, 16, v1
	v_and_or_b32 v19, 0x8000, v28, v23
	v_lshrrev_b32_e32 v7, 8, v36
	v_bfe_u32 v14, v36, 20, 11
	v_cndmask_b32_e32 v13, v56, v31, vcc_lo
	v_cmp_ne_u32_e32 vcc_lo, 0, v35
	s_waitcnt vmcnt(3)
	v_mul_f16_sdwa v15, v18, v4 dst_sel:DWORD dst_unused:UNUSED_PAD src0_sel:DWORD src1_sel:WORD_1
	v_and_or_b32 v20, 0x8000, v30, v25
	v_and_b32_e32 v19, 0xffff, v19
	v_bfe_u32 v23, v38, 20, 11
	v_cndmask_b32_e64 v0, 0, 1, vcc_lo
	v_cmp_ne_u32_e32 vcc_lo, 0, v33
	v_fmac_f16_e32 v15, v1, v4
	v_lshl_or_b32 v17, v20, 16, v19
	v_and_or_b32 v20, 0x8000, v32, v13
	v_and_or_b32 v7, 0xffe, v7, v0
	v_cndmask_b32_e64 v12, 0, 1, vcc_lo
	v_cmp_gt_i32_e32 vcc_lo, 31, v61
	v_sub_nc_u32_e32 v0, 0x3f1, v14
	v_cvt_f32_f16_e32 v15, v15
	v_or_b32_e32 v19, 0x1000, v7
	v_lshl_or_b32 v12, v12, 9, 0x7c00
	v_cndmask_b32_e32 v5, 0x7c00, v5, vcc_lo
	v_cmp_eq_u32_e32 vcc_lo, 0x40f, v61
	v_med3_i32 v0, v0, 0, 13
	v_mul_f16_sdwa v1, v1, v4 dst_sel:DWORD dst_unused:UNUSED_PAD src0_sel:DWORD src1_sel:WORD_1
	v_cndmask_b32_e32 v5, v5, v12, vcc_lo
	v_lshrrev_b32_e32 v12, 16, v34
	v_lshrrev_b32_e32 v21, v0, v19
	v_cmp_ne_u32_e32 vcc_lo, 0, v22
	v_lshrrev_b32_e32 v22, 8, v38
	v_fma_f16 v1, v4, v18, -v1
	v_and_or_b32 v5, 0x8000, v12, v5
	v_cvt_f64_f32_e32 v[12:13], v15
	v_and_b32_e32 v15, 0xffff, v20
	v_lshlrev_b32_e32 v0, v0, v21
	v_cndmask_b32_e64 v20, 0, 1, vcc_lo
	v_cvt_f32_f16_e32 v1, v1
	v_lshl_or_b32 v5, v5, 16, v15
	v_cmp_ne_u32_e32 vcc_lo, v0, v19
	v_add_nc_u32_e32 v19, 0xfffffc10, v14
	v_and_or_b32 v20, 0xffe, v22, v20
	v_sub_nc_u32_e32 v14, 0x3f1, v23
	v_cndmask_b32_e64 v0, 0, 1, vcc_lo
	v_or_b32_e32 v22, 0x1000, v20
	v_med3_i32 v24, v14, 0, 13
	v_add_co_u32 v14, vcc_lo, v43, s19
	v_add_co_ci_u32_e32 v15, vcc_lo, s22, v44, vcc_lo
	v_or_b32_e32 v0, v21, v0
	v_lshl_or_b32 v21, v19, 12, v7
	v_lshrrev_b32_e32 v25, v24, v22
	v_cmp_gt_i32_e32 vcc_lo, 1, v19
	v_mul_f64 v[12:13], v[12:13], s[24:25]
	global_store_dword v[43:44], v17, off
	global_store_dword v[14:15], v5, off
	v_add_nc_u32_e32 v17, 0xfffffc10, v23
	v_cndmask_b32_e32 v0, v21, v0, vcc_lo
	v_lshlrev_b32_e32 v21, v24, v25
	v_cmp_gt_i32_e64 s1, 1, v17
	v_and_b32_e32 v5, 7, v0
	v_cmp_ne_u32_e32 vcc_lo, v21, v22
	v_lshl_or_b32 v21, v17, 12, v20
	v_lshrrev_b32_e32 v22, 2, v0
	v_cvt_f64_f32_e32 v[0:1], v1
	v_cmp_eq_u32_e64 s0, 3, v5
	v_cndmask_b32_e64 v4, 0, 1, vcc_lo
	v_cmp_lt_i32_e32 vcc_lo, 5, v5
	v_or_b32_e32 v18, v25, v4
	s_or_b32 vcc_lo, s0, vcc_lo
	ds_read2_b32 v[4:5], v6 offset0:35 offset1:40
	v_and_or_b32 v12, 0x1ff, v13, v12
	v_bfe_u32 v23, v13, 20, 11
	v_cndmask_b32_e64 v6, v21, v18, s1
	v_add_co_ci_u32_e32 v18, vcc_lo, 0, v22, vcc_lo
	v_cmp_ne_u32_e32 vcc_lo, 0, v7
	v_lshrrev_b32_e32 v22, 8, v13
	v_and_b32_e32 v21, 7, v6
	v_lshrrev_b32_e32 v6, 2, v6
	v_cmp_eq_u32_e64 s1, 0x40f, v19
	v_cndmask_b32_e64 v7, 0, 1, vcc_lo
	v_cmp_ne_u32_e32 vcc_lo, 0, v12
	v_mul_f64 v[0:1], v[0:1], s[24:25]
	v_cmp_eq_u32_e64 s0, 3, v21
	v_lshl_or_b32 v7, v7, 9, 0x7c00
	v_cndmask_b32_e64 v12, 0, 1, vcc_lo
	v_cmp_gt_i32_e32 vcc_lo, 31, v19
	s_waitcnt lgkmcnt(0)
	v_lshrrev_b32_e32 v24, 16, v4
	v_and_or_b32 v12, 0xffe, v22, v12
	v_sub_nc_u32_e32 v22, 0x3f1, v23
	v_cndmask_b32_e32 v18, 0x7c00, v18, vcc_lo
	v_cmp_lt_i32_e32 vcc_lo, 5, v21
	s_waitcnt vmcnt(2)
	v_mul_f16_sdwa v25, v24, v9 dst_sel:DWORD dst_unused:UNUSED_PAD src0_sel:DWORD src1_sel:WORD_1
	v_or_b32_e32 v21, 0x1000, v12
	v_med3_i32 v22, v22, 0, 13
	v_cndmask_b32_e64 v18, v18, v7, s1
	s_or_b32 vcc_lo, s0, vcc_lo
	v_fmac_f16_e32 v25, v4, v9
	v_add_co_ci_u32_e32 v6, vcc_lo, 0, v6, vcc_lo
	v_lshrrev_b32_e32 v19, v22, v21
	v_cmp_gt_i32_e32 vcc_lo, 31, v17
	v_and_or_b32 v0, 0x1ff, v1, v0
	v_cvt_f32_f16_e32 v25, v25
	v_add_nc_u32_e32 v23, 0xfffffc10, v23
	v_lshlrev_b32_e32 v7, v22, v19
	v_cndmask_b32_e32 v26, 0x7c00, v6, vcc_lo
	v_bfe_u32 v27, v1, 20, 11
	v_lshrrev_b32_e32 v22, 16, v36
	v_mul_f16_sdwa v4, v4, v9 dst_sel:DWORD dst_unused:UNUSED_PAD src0_sel:DWORD src1_sel:WORD_1
	v_cmp_ne_u32_e32 vcc_lo, v7, v21
	v_cvt_f64_f32_e32 v[6:7], v25
	v_lshrrev_b32_e32 v25, 8, v1
	v_and_or_b32 v18, 0x8000, v22, v18
	v_fma_f16 v4, v9, v24, -v4
	v_cndmask_b32_e64 v21, 0, 1, vcc_lo
	v_cmp_ne_u32_e32 vcc_lo, 0, v20
	v_lshrrev_b32_e32 v1, 16, v1
	v_and_b32_e32 v22, 0xffff, v18
	v_cvt_f32_f16_e32 v4, v4
	v_or_b32_e32 v19, v19, v21
	v_cndmask_b32_e64 v20, 0, 1, vcc_lo
	v_cmp_ne_u32_e32 vcc_lo, 0, v0
	v_lshl_or_b32 v21, v23, 12, v12
	v_lshl_or_b32 v20, v20, 9, 0x7c00
	v_cndmask_b32_e64 v0, 0, 1, vcc_lo
	v_cmp_gt_i32_e32 vcc_lo, 1, v23
	v_and_or_b32 v0, 0xffe, v25, v0
	v_cndmask_b32_e32 v19, v21, v19, vcc_lo
	v_sub_nc_u32_e32 v21, 0x3f1, v27
	v_cmp_eq_u32_e32 vcc_lo, 0x40f, v17
	v_mul_f64 v[6:7], v[6:7], s[24:25]
	v_and_b32_e32 v25, 7, v19
	v_med3_i32 v21, v21, 0, 13
	v_cndmask_b32_e32 v17, v26, v20, vcc_lo
	v_lshrrev_b32_e32 v20, 16, v38
	v_or_b32_e32 v26, 0x1000, v0
	v_cmp_lt_i32_e32 vcc_lo, 5, v25
	v_cmp_eq_u32_e64 s0, 3, v25
	v_lshrrev_b32_e32 v18, 2, v19
	v_and_or_b32 v20, 0x8000, v20, v17
	v_lshrrev_b32_e32 v17, v21, v26
	s_or_b32 vcc_lo, s0, vcc_lo
	v_add_co_ci_u32_e32 v9, vcc_lo, 0, v18, vcc_lo
	v_lshlrev_b32_e32 v19, v21, v17
	v_lshl_or_b32 v20, v20, 16, v22
	v_cmp_ne_u32_e32 vcc_lo, v19, v26
	v_add_nc_u32_e32 v19, 0xfffffc10, v27
	v_and_or_b32 v6, 0x1ff, v7, v6
	v_cndmask_b32_e64 v18, 0, 1, vcc_lo
	v_cmp_ne_u32_e32 vcc_lo, 0, v12
	v_lshl_or_b32 v24, v19, 12, v0
	v_or_b32_e32 v21, v17, v18
	v_cndmask_b32_e64 v12, 0, 1, vcc_lo
	v_cmp_gt_i32_e32 vcc_lo, 31, v23
	v_cvt_f64_f32_e32 v[17:18], v4
	v_cndmask_b32_e32 v4, 0x7c00, v9, vcc_lo
	v_cmp_gt_i32_e32 vcc_lo, 1, v19
	v_lshl_or_b32 v9, v12, 9, 0x7c00
	v_cndmask_b32_e32 v12, v24, v21, vcc_lo
	v_cmp_ne_u32_e32 vcc_lo, 0, v6
	v_lshrrev_b32_e32 v21, 8, v7
	v_bfe_u32 v24, v7, 20, 11
	v_lshrrev_b32_e32 v22, 2, v12
	v_cndmask_b32_e64 v6, 0, 1, vcc_lo
	v_cmp_eq_u32_e32 vcc_lo, 0x40f, v23
	v_lshrrev_b32_e32 v23, 16, v5
	v_and_or_b32 v6, 0xffe, v21, v6
	v_cndmask_b32_e32 v4, v4, v9, vcc_lo
	v_lshrrev_b32_e32 v9, 16, v13
	v_and_b32_e32 v13, 7, v12
	v_sub_nc_u32_e32 v21, 0x3f1, v24
	v_and_or_b32 v4, 0x8000, v9, v4
	v_cmp_lt_i32_e32 vcc_lo, 5, v13
	v_cmp_eq_u32_e64 s0, 3, v13
	v_or_b32_e32 v9, 0x1000, v6
	v_med3_i32 v21, v21, 0, 13
	v_mul_f64 v[12:13], v[17:18], s[24:25]
	v_and_b32_e32 v4, 0xffff, v4
	s_or_b32 vcc_lo, s0, vcc_lo
	v_add_co_ci_u32_e32 v18, vcc_lo, 0, v22, vcc_lo
	v_lshrrev_b32_e32 v17, v21, v9
	v_cmp_ne_u32_e32 vcc_lo, 0, v0
	s_waitcnt vmcnt(1)
	v_mul_f16_sdwa v22, v23, v10 dst_sel:DWORD dst_unused:UNUSED_PAD src0_sel:DWORD src1_sel:WORD_1
	v_lshlrev_b32_e32 v21, v21, v17
	v_cndmask_b32_e64 v0, 0, 1, vcc_lo
	v_cmp_gt_i32_e32 vcc_lo, 31, v19
	v_fmac_f16_e32 v22, v5, v10
	v_lshl_or_b32 v0, v0, 9, 0x7c00
	v_cndmask_b32_e32 v18, 0x7c00, v18, vcc_lo
	v_cmp_ne_u32_e32 vcc_lo, v21, v9
	v_add_nc_u32_e32 v21, 0xfffffc10, v24
	v_cvt_f32_f16_e32 v22, v22
	v_and_or_b32 v12, 0x1ff, v13, v12
	v_cndmask_b32_e64 v9, 0, 1, vcc_lo
	v_cmp_eq_u32_e32 vcc_lo, 0x40f, v19
	v_lshl_or_b32 v19, v21, 12, v6
	v_or_b32_e32 v9, v17, v9
	v_cndmask_b32_e32 v0, v18, v0, vcc_lo
	v_cmp_gt_i32_e32 vcc_lo, 1, v21
	v_cvt_f64_f32_e32 v[17:18], v22
	v_bfe_u32 v22, v13, 20, 11
	v_and_or_b32 v24, 0x8000, v1, v0
	v_cndmask_b32_e32 v9, v19, v9, vcc_lo
	v_cmp_ne_u32_e32 vcc_lo, 0, v12
	v_lshrrev_b32_e32 v19, 8, v13
	v_lshrrev_b32_e32 v13, 16, v13
	v_lshl_or_b32 v24, v24, 16, v4
	v_and_b32_e32 v25, 7, v9
	v_cndmask_b32_e64 v12, 0, 1, vcc_lo
	v_add_co_u32 v0, vcc_lo, v14, s19
	v_add_co_ci_u32_e32 v1, vcc_lo, s22, v15, vcc_lo
	v_and_or_b32 v12, 0xffe, v19, v12
	v_sub_nc_u32_e32 v19, 0x3f1, v22
	v_cmp_lt_i32_e32 vcc_lo, 5, v25
	v_cmp_eq_u32_e64 s0, 3, v25
	v_lshrrev_b32_e32 v9, 2, v9
	v_or_b32_e32 v26, 0x1000, v12
	v_med3_i32 v19, v19, 0, 13
	v_mul_f64 v[14:15], v[17:18], s[24:25]
	v_mul_f16_sdwa v18, v5, v10 dst_sel:DWORD dst_unused:UNUSED_PAD src0_sel:DWORD src1_sel:WORD_1
	s_or_b32 vcc_lo, s0, vcc_lo
	v_add_co_u32 v4, s1, v0, s19
	v_lshrrev_b32_e32 v17, v19, v26
	v_fma_f16 v10, v10, v23, -v18
	v_add_co_ci_u32_e32 v18, vcc_lo, 0, v9, vcc_lo
	v_add_co_ci_u32_e64 v5, s1, s22, v1, s1
	v_lshlrev_b32_e32 v19, v19, v17
	v_cvt_f32_f16_e32 v10, v10
	v_cmp_ne_u32_e32 vcc_lo, v19, v26
	v_add_nc_u32_e32 v19, 0xfffffc10, v22
	v_cndmask_b32_e64 v9, 0, 1, vcc_lo
	v_cmp_ne_u32_e32 vcc_lo, 0, v6
	v_lshl_or_b32 v22, v19, 12, v12
	v_and_or_b32 v14, 0x1ff, v15, v14
	v_bfe_u32 v23, v15, 20, 11
	v_or_b32_e32 v17, v17, v9
	v_cndmask_b32_e64 v6, 0, 1, vcc_lo
	v_cmp_gt_i32_e32 vcc_lo, 31, v21
	v_cvt_f64_f32_e32 v[9:10], v10
	v_lshl_or_b32 v6, v6, 9, 0x7c00
	v_cndmask_b32_e32 v18, 0x7c00, v18, vcc_lo
	v_cmp_gt_i32_e32 vcc_lo, 1, v19
	v_cndmask_b32_e32 v17, v22, v17, vcc_lo
	v_cmp_ne_u32_e32 vcc_lo, 0, v14
	v_lshrrev_b32_e32 v22, 8, v15
	v_lshrrev_b32_e32 v15, 16, v15
	v_and_b32_e32 v25, 7, v17
	v_cndmask_b32_e64 v14, 0, 1, vcc_lo
	v_cmp_eq_u32_e32 vcc_lo, 0x40f, v21
	v_lshrrev_b32_e32 v21, 16, v7
	v_cmp_eq_u32_e64 s0, 3, v25
	v_and_or_b32 v14, 0xffe, v22, v14
	v_cndmask_b32_e32 v18, v18, v6, vcc_lo
	v_sub_nc_u32_e32 v6, 0x3f1, v23
	v_cmp_lt_i32_e32 vcc_lo, 5, v25
	v_add_nc_u32_e32 v23, 0xfffffc10, v23
	v_or_b32_e32 v22, 0x1000, v14
	v_and_or_b32 v18, 0x8000, v21, v18
	v_med3_i32 v25, v6, 0, 13
	v_mul_f64 v[6:7], v[9:10], s[24:25]
	v_lshrrev_b32_e32 v9, 2, v17
	s_or_b32 vcc_lo, s0, vcc_lo
	v_lshrrev_b32_e32 v17, 16, v11
	v_lshrrev_b32_e32 v10, v25, v22
	v_and_b32_e32 v18, 0xffff, v18
	v_add_co_ci_u32_e32 v9, vcc_lo, 0, v9, vcc_lo
	v_cmp_ne_u32_e32 vcc_lo, 0, v12
	v_lshlrev_b32_e32 v25, v25, v10
	s_waitcnt vmcnt(0)
	v_mul_f16_sdwa v21, v17, v8 dst_sel:DWORD dst_unused:UNUSED_PAD src0_sel:DWORD src1_sel:WORD_1
	v_cndmask_b32_e64 v12, 0, 1, vcc_lo
	v_cmp_gt_i32_e32 vcc_lo, 31, v19
	v_fmac_f16_e32 v21, v11, v8
	v_mul_f16_sdwa v11, v11, v8 dst_sel:DWORD dst_unused:UNUSED_PAD src0_sel:DWORD src1_sel:WORD_1
	v_lshl_or_b32 v12, v12, 9, 0x7c00
	v_cndmask_b32_e32 v9, 0x7c00, v9, vcc_lo
	v_cmp_ne_u32_e32 vcc_lo, v25, v22
	v_cvt_f32_f16_e32 v21, v21
	v_and_or_b32 v6, 0x1ff, v7, v6
	v_bfe_u32 v25, v7, 20, 11
	v_fma_f16 v8, v8, v17, -v11
	v_cndmask_b32_e64 v22, 0, 1, vcc_lo
	v_cmp_eq_u32_e32 vcc_lo, 0x40f, v19
	v_sub_nc_u32_e32 v11, 0x3f1, v25
	v_cvt_f32_f16_e32 v8, v8
	v_or_b32_e32 v19, v10, v22
	v_cndmask_b32_e32 v12, v9, v12, vcc_lo
	v_cmp_ne_u32_e32 vcc_lo, 0, v6
	v_lshl_or_b32 v22, v23, 12, v14
	v_cvt_f64_f32_e32 v[9:10], v21
	v_lshrrev_b32_e32 v21, 8, v7
	v_and_or_b32 v13, 0x8000, v13, v12
	v_cndmask_b32_e64 v6, 0, 1, vcc_lo
	v_cmp_gt_i32_e32 vcc_lo, 1, v23
	v_lshl_or_b32 v18, v13, 16, v18
	v_and_or_b32 v6, 0xffe, v21, v6
	v_cndmask_b32_e32 v17, v22, v19, vcc_lo
	v_med3_i32 v22, v11, 0, 13
	v_cvt_f64_f32_e32 v[11:12], v8
	v_or_b32_e32 v21, 0x1000, v6
	v_and_b32_e32 v19, 7, v17
	v_lshrrev_b32_e32 v17, 2, v17
	v_lshrrev_b32_e32 v26, v22, v21
	v_cmp_lt_i32_e32 vcc_lo, 5, v19
	v_cmp_eq_u32_e64 s0, 3, v19
	v_mul_f64 v[8:9], v[9:10], s[24:25]
	v_lshlrev_b32_e32 v10, v22, v26
	s_or_b32 vcc_lo, s0, vcc_lo
	v_add_co_ci_u32_e32 v13, vcc_lo, 0, v17, vcc_lo
	v_cmp_ne_u32_e32 vcc_lo, 0, v14
	v_add_nc_u32_e32 v17, 0xfffffc10, v25
	v_cndmask_b32_e64 v14, 0, 1, vcc_lo
	v_cmp_ne_u32_e32 vcc_lo, v10, v21
	v_lshl_or_b32 v21, v17, 12, v6
	v_lshl_or_b32 v14, v14, 9, 0x7c00
	v_cndmask_b32_e64 v10, 0, 1, vcc_lo
	v_cmp_gt_i32_e32 vcc_lo, 31, v23
	v_and_or_b32 v8, 0x1ff, v9, v8
	v_or_b32_e32 v19, v26, v10
	v_cndmask_b32_e32 v13, 0x7c00, v13, vcc_lo
	v_cmp_eq_u32_e32 vcc_lo, 0x40f, v23
	v_mul_f64 v[10:11], v[11:12], s[24:25]
	v_bfe_u32 v22, v9, 20, 11
	v_cndmask_b32_e32 v14, v13, v14, vcc_lo
	v_cmp_gt_i32_e32 vcc_lo, 1, v17
	v_cndmask_b32_e32 v19, v21, v19, vcc_lo
	v_add_co_u32 v12, vcc_lo, v4, s19
	v_add_co_ci_u32_e32 v13, vcc_lo, s22, v5, vcc_lo
	v_cmp_ne_u32_e32 vcc_lo, 0, v8
	v_and_or_b32 v21, 0x8000, v15, v14
	v_and_b32_e32 v14, 7, v19
	v_lshrrev_b32_e32 v15, 8, v9
	v_lshrrev_b32_e32 v9, 16, v9
	v_cndmask_b32_e64 v8, 0, 1, vcc_lo
	v_and_b32_e32 v21, 0xffff, v21
	v_cmp_lt_i32_e32 vcc_lo, 5, v14
	v_cmp_eq_u32_e64 s0, 3, v14
	v_lshrrev_b32_e32 v14, 2, v19
	v_and_or_b32 v8, 0xffe, v15, v8
	v_sub_nc_u32_e32 v15, 0x3f1, v22
	v_and_or_b32 v10, 0x1ff, v11, v10
	s_or_b32 vcc_lo, s0, vcc_lo
	v_lshrrev_b32_e32 v23, 8, v11
	v_add_co_ci_u32_e32 v14, vcc_lo, 0, v14, vcc_lo
	v_or_b32_e32 v19, 0x1000, v8
	v_med3_i32 v15, v15, 0, 13
	v_cmp_ne_u32_e32 vcc_lo, 0, v10
	v_bfe_u32 v25, v11, 20, 11
	v_add_nc_u32_e32 v22, 0xfffffc10, v22
	v_lshrrev_b32_e32 v26, v15, v19
	v_cndmask_b32_e64 v10, 0, 1, vcc_lo
	v_cmp_ne_u32_e32 vcc_lo, 0, v6
	v_cmp_gt_i32_e64 s1, 31, v22
	v_lshlrev_b32_e32 v28, v15, v26
	v_and_or_b32 v10, 0xffe, v23, v10
	v_cndmask_b32_e64 v6, 0, 1, vcc_lo
	v_sub_nc_u32_e32 v23, 0x3f1, v25
	v_cmp_gt_i32_e32 vcc_lo, 31, v17
	v_or_b32_e32 v29, 0x1000, v10
	v_lshl_or_b32 v6, v6, 9, 0x7c00
	v_med3_i32 v23, v23, 0, 13
	v_cndmask_b32_e32 v27, 0x7c00, v14, vcc_lo
	v_cmp_ne_u32_e32 vcc_lo, v28, v19
	v_mad_u64_u32 v[14:15], null, s20, v16, 0
	v_lshrrev_b32_e32 v28, v23, v29
	v_cndmask_b32_e64 v19, 0, 1, vcc_lo
	v_cmp_eq_u32_e32 vcc_lo, 0x40f, v17
	v_lshlrev_b32_e32 v23, v23, v28
	v_or_b32_e32 v19, v26, v19
	v_cndmask_b32_e32 v17, v27, v6, vcc_lo
	v_lshl_or_b32 v26, v22, 12, v8
	v_cmp_gt_i32_e32 vcc_lo, 1, v22
	v_mov_b32_e32 v6, v15
	v_lshrrev_b32_e32 v27, 16, v7
	v_cndmask_b32_e32 v19, v26, v19, vcc_lo
	v_cmp_ne_u32_e32 vcc_lo, v23, v29
	v_add_nc_u32_e32 v23, 0xfffffc10, v25
	v_mad_u64_u32 v[6:7], null, s21, v16, v[6:7]
	v_and_b32_e32 v7, 7, v19
	v_cndmask_b32_e64 v15, 0, 1, vcc_lo
	v_lshl_or_b32 v16, v23, 12, v10
	v_cmp_gt_i32_e64 s0, 1, v23
	v_and_or_b32 v17, 0x8000, v27, v17
	v_cmp_lt_i32_e32 vcc_lo, 5, v7
	v_or_b32_e32 v15, v28, v15
	v_lshl_or_b32 v17, v17, 16, v21
	v_cndmask_b32_e64 v16, v16, v15, s0
	v_cmp_eq_u32_e64 s0, 3, v7
	v_mov_b32_e32 v15, v6
	v_lshrrev_b32_e32 v6, 2, v19
	v_and_b32_e32 v7, 7, v16
	s_or_b32 vcc_lo, s0, vcc_lo
	v_add_co_ci_u32_e32 v6, vcc_lo, 0, v6, vcc_lo
	v_cmp_ne_u32_e32 vcc_lo, 0, v8
	v_cmp_eq_u32_e64 s0, 3, v7
	v_cndmask_b32_e64 v8, 0, 1, vcc_lo
	v_cmp_lt_i32_e32 vcc_lo, 5, v7
	v_lshrrev_b32_e32 v7, 2, v16
	v_cndmask_b32_e64 v16, 0x7c00, v6, s1
	v_lshl_or_b32 v8, v8, 9, 0x7c00
	s_or_b32 vcc_lo, s0, vcc_lo
	v_add_co_ci_u32_e32 v19, vcc_lo, 0, v7, vcc_lo
	v_cmp_ne_u32_e32 vcc_lo, 0, v10
	v_mad_u64_u32 v[6:7], null, s20, 40, v[12:13]
	v_cndmask_b32_e64 v10, 0, 1, vcc_lo
	v_cmp_gt_i32_e32 vcc_lo, 31, v23
	v_lshl_or_b32 v10, v10, 9, 0x7c00
	v_cndmask_b32_e32 v19, 0x7c00, v19, vcc_lo
	v_cmp_eq_u32_e32 vcc_lo, 0x40f, v22
	v_cndmask_b32_e32 v8, v16, v8, vcc_lo
	v_cmp_eq_u32_e32 vcc_lo, 0x40f, v23
	v_and_or_b32 v21, 0x8000, v9, v8
	v_lshlrev_b64 v[8:9], 2, v[14:15]
	v_cndmask_b32_e32 v16, v19, v10, vcc_lo
	v_lshrrev_b32_e32 v19, 16, v11
	v_mad_u64_u32 v[10:11], null, s21, 40, v[7:8]
	v_and_or_b32 v7, 0x8000, v19, v16
	v_and_b32_e32 v11, 0xffff, v21
	v_add_co_u32 v2, vcc_lo, v2, v8
	v_add_co_ci_u32_e32 v3, vcc_lo, v3, v9, vcc_lo
	v_lshl_or_b32 v8, v7, 16, v11
	v_mov_b32_e32 v7, v10
	global_store_dword v[0:1], v20, off
	global_store_dword v[4:5], v24, off
	;; [unrolled: 1-line block ×5, first 2 shown]
.LBB0_15:
	s_endpgm
	.section	.rodata,"a",@progbits
	.p2align	6, 0x0
	.amdhsa_kernel bluestein_single_fwd_len50_dim1_half_op_CI_CI
		.amdhsa_group_segment_fixed_size 5000
		.amdhsa_private_segment_fixed_size 0
		.amdhsa_kernarg_size 104
		.amdhsa_user_sgpr_count 6
		.amdhsa_user_sgpr_private_segment_buffer 1
		.amdhsa_user_sgpr_dispatch_ptr 0
		.amdhsa_user_sgpr_queue_ptr 0
		.amdhsa_user_sgpr_kernarg_segment_ptr 1
		.amdhsa_user_sgpr_dispatch_id 0
		.amdhsa_user_sgpr_flat_scratch_init 0
		.amdhsa_user_sgpr_private_segment_size 0
		.amdhsa_wavefront_size32 1
		.amdhsa_uses_dynamic_stack 0
		.amdhsa_system_sgpr_private_segment_wavefront_offset 0
		.amdhsa_system_sgpr_workgroup_id_x 1
		.amdhsa_system_sgpr_workgroup_id_y 0
		.amdhsa_system_sgpr_workgroup_id_z 0
		.amdhsa_system_sgpr_workgroup_info 0
		.amdhsa_system_vgpr_workitem_id 0
		.amdhsa_next_free_vgpr 89
		.amdhsa_next_free_sgpr 26
		.amdhsa_reserve_vcc 1
		.amdhsa_reserve_flat_scratch 0
		.amdhsa_float_round_mode_32 0
		.amdhsa_float_round_mode_16_64 0
		.amdhsa_float_denorm_mode_32 3
		.amdhsa_float_denorm_mode_16_64 3
		.amdhsa_dx10_clamp 1
		.amdhsa_ieee_mode 1
		.amdhsa_fp16_overflow 0
		.amdhsa_workgroup_processor_mode 1
		.amdhsa_memory_ordered 1
		.amdhsa_forward_progress 0
		.amdhsa_shared_vgpr_count 0
		.amdhsa_exception_fp_ieee_invalid_op 0
		.amdhsa_exception_fp_denorm_src 0
		.amdhsa_exception_fp_ieee_div_zero 0
		.amdhsa_exception_fp_ieee_overflow 0
		.amdhsa_exception_fp_ieee_underflow 0
		.amdhsa_exception_fp_ieee_inexact 0
		.amdhsa_exception_int_div_zero 0
	.end_amdhsa_kernel
	.text
.Lfunc_end0:
	.size	bluestein_single_fwd_len50_dim1_half_op_CI_CI, .Lfunc_end0-bluestein_single_fwd_len50_dim1_half_op_CI_CI
                                        ; -- End function
	.section	.AMDGPU.csdata,"",@progbits
; Kernel info:
; codeLenInByte = 11080
; NumSgprs: 28
; NumVgprs: 89
; ScratchSize: 0
; MemoryBound: 0
; FloatMode: 240
; IeeeMode: 1
; LDSByteSize: 5000 bytes/workgroup (compile time only)
; SGPRBlocks: 3
; VGPRBlocks: 11
; NumSGPRsForWavesPerEU: 28
; NumVGPRsForWavesPerEU: 89
; Occupancy: 10
; WaveLimiterHint : 1
; COMPUTE_PGM_RSRC2:SCRATCH_EN: 0
; COMPUTE_PGM_RSRC2:USER_SGPR: 6
; COMPUTE_PGM_RSRC2:TRAP_HANDLER: 0
; COMPUTE_PGM_RSRC2:TGID_X_EN: 1
; COMPUTE_PGM_RSRC2:TGID_Y_EN: 0
; COMPUTE_PGM_RSRC2:TGID_Z_EN: 0
; COMPUTE_PGM_RSRC2:TIDIG_COMP_CNT: 0
	.text
	.p2alignl 6, 3214868480
	.fill 48, 4, 3214868480
	.type	__hip_cuid_76e06279c70f13fc,@object ; @__hip_cuid_76e06279c70f13fc
	.section	.bss,"aw",@nobits
	.globl	__hip_cuid_76e06279c70f13fc
__hip_cuid_76e06279c70f13fc:
	.byte	0                               ; 0x0
	.size	__hip_cuid_76e06279c70f13fc, 1

	.ident	"AMD clang version 19.0.0git (https://github.com/RadeonOpenCompute/llvm-project roc-6.4.0 25133 c7fe45cf4b819c5991fe208aaa96edf142730f1d)"
	.section	".note.GNU-stack","",@progbits
	.addrsig
	.addrsig_sym __hip_cuid_76e06279c70f13fc
	.amdgpu_metadata
---
amdhsa.kernels:
  - .args:
      - .actual_access:  read_only
        .address_space:  global
        .offset:         0
        .size:           8
        .value_kind:     global_buffer
      - .actual_access:  read_only
        .address_space:  global
        .offset:         8
        .size:           8
        .value_kind:     global_buffer
      - .actual_access:  read_only
        .address_space:  global
        .offset:         16
        .size:           8
        .value_kind:     global_buffer
      - .actual_access:  read_only
        .address_space:  global
        .offset:         24
        .size:           8
        .value_kind:     global_buffer
      - .actual_access:  read_only
        .address_space:  global
        .offset:         32
        .size:           8
        .value_kind:     global_buffer
      - .offset:         40
        .size:           8
        .value_kind:     by_value
      - .address_space:  global
        .offset:         48
        .size:           8
        .value_kind:     global_buffer
      - .address_space:  global
        .offset:         56
        .size:           8
        .value_kind:     global_buffer
      - .address_space:  global
        .offset:         64
        .size:           8
        .value_kind:     global_buffer
      - .address_space:  global
        .offset:         72
        .size:           8
        .value_kind:     global_buffer
      - .offset:         80
        .size:           4
        .value_kind:     by_value
      - .address_space:  global
        .offset:         88
        .size:           8
        .value_kind:     global_buffer
      - .address_space:  global
        .offset:         96
        .size:           8
        .value_kind:     global_buffer
    .group_segment_fixed_size: 5000
    .kernarg_segment_align: 8
    .kernarg_segment_size: 104
    .language:       OpenCL C
    .language_version:
      - 2
      - 0
    .max_flat_workgroup_size: 250
    .name:           bluestein_single_fwd_len50_dim1_half_op_CI_CI
    .private_segment_fixed_size: 0
    .sgpr_count:     28
    .sgpr_spill_count: 0
    .symbol:         bluestein_single_fwd_len50_dim1_half_op_CI_CI.kd
    .uniform_work_group_size: 1
    .uses_dynamic_stack: false
    .vgpr_count:     89
    .vgpr_spill_count: 0
    .wavefront_size: 32
    .workgroup_processor_mode: 1
amdhsa.target:   amdgcn-amd-amdhsa--gfx1030
amdhsa.version:
  - 1
  - 2
...

	.end_amdgpu_metadata
